;; amdgpu-corpus repo=ROCm/rocFFT kind=compiled arch=gfx950 opt=O3
	.text
	.amdgcn_target "amdgcn-amd-amdhsa--gfx950"
	.amdhsa_code_object_version 6
	.protected	fft_rtc_fwd_len2160_factors_10_6_6_6_wgs_60_tpt_60_halfLds_dp_op_CI_CI_unitstride_sbrr_R2C_dirReg ; -- Begin function fft_rtc_fwd_len2160_factors_10_6_6_6_wgs_60_tpt_60_halfLds_dp_op_CI_CI_unitstride_sbrr_R2C_dirReg
	.globl	fft_rtc_fwd_len2160_factors_10_6_6_6_wgs_60_tpt_60_halfLds_dp_op_CI_CI_unitstride_sbrr_R2C_dirReg
	.p2align	8
	.type	fft_rtc_fwd_len2160_factors_10_6_6_6_wgs_60_tpt_60_halfLds_dp_op_CI_CI_unitstride_sbrr_R2C_dirReg,@function
fft_rtc_fwd_len2160_factors_10_6_6_6_wgs_60_tpt_60_halfLds_dp_op_CI_CI_unitstride_sbrr_R2C_dirReg: ; @fft_rtc_fwd_len2160_factors_10_6_6_6_wgs_60_tpt_60_halfLds_dp_op_CI_CI_unitstride_sbrr_R2C_dirReg
; %bb.0:
	s_load_dwordx4 s[4:7], s[0:1], 0x58
	s_load_dwordx4 s[8:11], s[0:1], 0x0
	;; [unrolled: 1-line block ×3, first 2 shown]
	v_mul_u32_u24_e32 v1, 0x445, v0
	v_add_u32_sdwa v6, s2, v1 dst_sel:DWORD dst_unused:UNUSED_PAD src0_sel:DWORD src1_sel:WORD_1
	v_mov_b32_e32 v4, 0
	s_waitcnt lgkmcnt(0)
	v_cmp_lt_u64_e64 s[2:3], s[10:11], 2
	v_mov_b32_e32 v7, v4
	s_and_b64 vcc, exec, s[2:3]
	v_mov_b64_e32 v[2:3], 0
	s_cbranch_vccnz .LBB0_8
; %bb.1:
	s_load_dwordx2 s[2:3], s[0:1], 0x10
	s_add_u32 s16, s14, 8
	s_addc_u32 s17, s15, 0
	s_add_u32 s18, s12, 8
	s_addc_u32 s19, s13, 0
	s_waitcnt lgkmcnt(0)
	s_add_u32 s20, s2, 8
	v_mov_b64_e32 v[2:3], 0
	s_addc_u32 s21, s3, 0
	s_mov_b64 s[22:23], 1
	v_mov_b64_e32 v[190:191], v[2:3]
.LBB0_2:                                ; =>This Inner Loop Header: Depth=1
	s_load_dwordx2 s[24:25], s[20:21], 0x0
                                        ; implicit-def: $vgpr210_vgpr211
	s_waitcnt lgkmcnt(0)
	v_or_b32_e32 v5, s25, v7
	v_cmp_ne_u64_e32 vcc, 0, v[4:5]
	s_and_saveexec_b64 s[2:3], vcc
	s_xor_b64 s[26:27], exec, s[2:3]
	s_cbranch_execz .LBB0_4
; %bb.3:                                ;   in Loop: Header=BB0_2 Depth=1
	v_cvt_f32_u32_e32 v1, s24
	v_cvt_f32_u32_e32 v5, s25
	s_sub_u32 s2, 0, s24
	s_subb_u32 s3, 0, s25
	v_fmac_f32_e32 v1, 0x4f800000, v5
	v_rcp_f32_e32 v1, v1
	s_nop 0
	v_mul_f32_e32 v1, 0x5f7ffffc, v1
	v_mul_f32_e32 v5, 0x2f800000, v1
	v_trunc_f32_e32 v5, v5
	v_fmac_f32_e32 v1, 0xcf800000, v5
	v_cvt_u32_f32_e32 v5, v5
	v_cvt_u32_f32_e32 v1, v1
	v_mul_lo_u32 v8, s2, v5
	v_mul_hi_u32 v10, s2, v1
	v_mul_lo_u32 v9, s3, v1
	v_add_u32_e32 v10, v10, v8
	v_mul_lo_u32 v12, s2, v1
	v_add_u32_e32 v13, v10, v9
	v_mul_hi_u32 v8, v1, v12
	v_mul_hi_u32 v11, v1, v13
	v_mul_lo_u32 v10, v1, v13
	v_mov_b32_e32 v9, v4
	v_lshl_add_u64 v[8:9], v[8:9], 0, v[10:11]
	v_mul_hi_u32 v11, v5, v12
	v_mul_lo_u32 v12, v5, v12
	v_add_co_u32_e32 v8, vcc, v8, v12
	v_mul_hi_u32 v10, v5, v13
	s_nop 0
	v_addc_co_u32_e32 v8, vcc, v9, v11, vcc
	v_mov_b32_e32 v9, v4
	s_nop 0
	v_addc_co_u32_e32 v11, vcc, 0, v10, vcc
	v_mul_lo_u32 v10, v5, v13
	v_lshl_add_u64 v[8:9], v[8:9], 0, v[10:11]
	v_add_co_u32_e32 v1, vcc, v1, v8
	v_mul_lo_u32 v10, s2, v1
	s_nop 0
	v_addc_co_u32_e32 v5, vcc, v5, v9, vcc
	v_mul_lo_u32 v8, s2, v5
	v_mul_hi_u32 v9, s2, v1
	v_add_u32_e32 v8, v9, v8
	v_mul_lo_u32 v9, s3, v1
	v_add_u32_e32 v12, v8, v9
	v_mul_hi_u32 v14, v5, v10
	v_mul_lo_u32 v15, v5, v10
	v_mul_hi_u32 v9, v1, v12
	v_mul_lo_u32 v8, v1, v12
	v_mul_hi_u32 v10, v1, v10
	v_mov_b32_e32 v11, v4
	v_lshl_add_u64 v[8:9], v[10:11], 0, v[8:9]
	v_add_co_u32_e32 v8, vcc, v8, v15
	v_mul_hi_u32 v13, v5, v12
	s_nop 0
	v_addc_co_u32_e32 v8, vcc, v9, v14, vcc
	v_mul_lo_u32 v10, v5, v12
	s_nop 0
	v_addc_co_u32_e32 v11, vcc, 0, v13, vcc
	v_mov_b32_e32 v9, v4
	v_lshl_add_u64 v[8:9], v[8:9], 0, v[10:11]
	v_add_co_u32_e32 v1, vcc, v1, v8
	v_mul_hi_u32 v10, v6, v1
	s_nop 0
	v_addc_co_u32_e32 v5, vcc, v5, v9, vcc
	v_mad_u64_u32 v[8:9], s[2:3], v6, v5, 0
	v_mov_b32_e32 v11, v4
	v_lshl_add_u64 v[8:9], v[10:11], 0, v[8:9]
	v_mad_u64_u32 v[12:13], s[2:3], v7, v1, 0
	v_add_co_u32_e32 v1, vcc, v8, v12
	v_mad_u64_u32 v[10:11], s[2:3], v7, v5, 0
	s_nop 0
	v_addc_co_u32_e32 v8, vcc, v9, v13, vcc
	v_mov_b32_e32 v9, v4
	s_nop 0
	v_addc_co_u32_e32 v11, vcc, 0, v11, vcc
	v_lshl_add_u64 v[8:9], v[8:9], 0, v[10:11]
	v_mul_lo_u32 v1, s25, v8
	v_mul_lo_u32 v5, s24, v9
	v_mad_u64_u32 v[10:11], s[2:3], s24, v8, 0
	v_add3_u32 v1, v11, v5, v1
	v_sub_u32_e32 v5, v7, v1
	v_mov_b32_e32 v11, s25
	v_sub_co_u32_e32 v14, vcc, v6, v10
	v_lshl_add_u64 v[12:13], v[8:9], 0, 1
	s_nop 0
	v_subb_co_u32_e64 v5, s[2:3], v5, v11, vcc
	v_subrev_co_u32_e64 v10, s[2:3], s24, v14
	v_subb_co_u32_e32 v1, vcc, v7, v1, vcc
	s_nop 0
	v_subbrev_co_u32_e64 v5, s[2:3], 0, v5, s[2:3]
	v_cmp_le_u32_e64 s[2:3], s25, v5
	v_cmp_le_u32_e32 vcc, s25, v1
	s_nop 0
	v_cndmask_b32_e64 v11, 0, -1, s[2:3]
	v_cmp_le_u32_e64 s[2:3], s24, v10
	s_nop 1
	v_cndmask_b32_e64 v10, 0, -1, s[2:3]
	v_cmp_eq_u32_e64 s[2:3], s25, v5
	s_nop 1
	v_cndmask_b32_e64 v5, v11, v10, s[2:3]
	v_lshl_add_u64 v[10:11], v[8:9], 0, 2
	v_cmp_ne_u32_e64 s[2:3], 0, v5
	s_nop 1
	v_cndmask_b32_e64 v5, v13, v11, s[2:3]
	v_cndmask_b32_e64 v11, 0, -1, vcc
	v_cmp_le_u32_e32 vcc, s24, v14
	s_nop 1
	v_cndmask_b32_e64 v13, 0, -1, vcc
	v_cmp_eq_u32_e32 vcc, s25, v1
	s_nop 1
	v_cndmask_b32_e32 v1, v11, v13, vcc
	v_cmp_ne_u32_e32 vcc, 0, v1
	v_cndmask_b32_e64 v1, v12, v10, s[2:3]
	s_nop 0
	v_cndmask_b32_e32 v211, v9, v5, vcc
	v_cndmask_b32_e32 v210, v8, v1, vcc
.LBB0_4:                                ;   in Loop: Header=BB0_2 Depth=1
	s_andn2_saveexec_b64 s[2:3], s[26:27]
	s_cbranch_execz .LBB0_6
; %bb.5:                                ;   in Loop: Header=BB0_2 Depth=1
	v_cvt_f32_u32_e32 v1, s24
	s_sub_i32 s26, 0, s24
	v_mov_b32_e32 v211, v4
	v_rcp_iflag_f32_e32 v1, v1
	s_nop 0
	v_mul_f32_e32 v1, 0x4f7ffffe, v1
	v_cvt_u32_f32_e32 v1, v1
	v_mul_lo_u32 v5, s26, v1
	v_mul_hi_u32 v5, v1, v5
	v_add_u32_e32 v1, v1, v5
	v_mul_hi_u32 v1, v6, v1
	v_mul_lo_u32 v5, v1, s24
	v_sub_u32_e32 v5, v6, v5
	v_add_u32_e32 v8, 1, v1
	v_subrev_u32_e32 v9, s24, v5
	v_cmp_le_u32_e32 vcc, s24, v5
	s_nop 1
	v_cndmask_b32_e32 v5, v5, v9, vcc
	v_cndmask_b32_e32 v1, v1, v8, vcc
	v_add_u32_e32 v8, 1, v1
	v_cmp_le_u32_e32 vcc, s24, v5
	s_nop 1
	v_cndmask_b32_e32 v210, v1, v8, vcc
.LBB0_6:                                ;   in Loop: Header=BB0_2 Depth=1
	s_or_b64 exec, exec, s[2:3]
	v_mad_u64_u32 v[8:9], s[2:3], v210, s24, 0
	s_load_dwordx2 s[2:3], s[18:19], 0x0
	v_mul_lo_u32 v1, v211, s24
	v_mul_lo_u32 v5, v210, s25
	s_load_dwordx2 s[24:25], s[16:17], 0x0
	s_add_u32 s22, s22, 1
	v_add3_u32 v1, v9, v5, v1
	v_sub_co_u32_e32 v5, vcc, v6, v8
	s_addc_u32 s23, s23, 0
	s_nop 0
	v_subb_co_u32_e32 v1, vcc, v7, v1, vcc
	s_add_u32 s16, s16, 8
	s_waitcnt lgkmcnt(0)
	v_mul_lo_u32 v6, s2, v1
	v_mul_lo_u32 v7, s3, v5
	v_mad_u64_u32 v[2:3], s[2:3], s2, v5, v[2:3]
	s_addc_u32 s17, s17, 0
	v_add3_u32 v3, v7, v3, v6
	v_mul_lo_u32 v1, s24, v1
	v_mul_lo_u32 v6, s25, v5
	v_mad_u64_u32 v[190:191], s[2:3], s24, v5, v[190:191]
	s_add_u32 s18, s18, 8
	v_add3_u32 v191, v6, v191, v1
	s_addc_u32 s19, s19, 0
	v_mov_b64_e32 v[6:7], s[10:11]
	s_add_u32 s20, s20, 8
	v_cmp_ge_u64_e32 vcc, s[22:23], v[6:7]
	s_addc_u32 s21, s21, 0
	s_cbranch_vccnz .LBB0_9
; %bb.7:                                ;   in Loop: Header=BB0_2 Depth=1
	v_mov_b64_e32 v[6:7], v[210:211]
	s_branch .LBB0_2
.LBB0_8:
	v_mov_b64_e32 v[190:191], v[2:3]
	v_mov_b64_e32 v[210:211], v[6:7]
.LBB0_9:
	s_load_dwordx2 s[18:19], s[0:1], 0x28
	s_lshl_b64 s[16:17], s[10:11], 3
	s_add_u32 s2, s14, s16
	s_addc_u32 s3, s15, s17
                                        ; implicit-def: $vgpr176
                                        ; implicit-def: $vgpr180
                                        ; implicit-def: $vgpr192
                                        ; implicit-def: $vgpr188
	s_waitcnt lgkmcnt(0)
	v_cmp_gt_u64_e64 s[0:1], s[18:19], v[210:211]
	v_cmp_le_u64_e32 vcc, s[18:19], v[210:211]
	s_and_saveexec_b64 s[10:11], vcc
	s_xor_b64 s[10:11], exec, s[10:11]
; %bb.10:
	s_mov_b32 s14, 0x4444445
	v_mul_hi_u32 v1, v0, s14
	v_mul_u32_u24_e32 v1, 60, v1
	v_sub_u32_e32 v176, v0, v1
	v_add_u32_e32 v180, 60, v176
	v_add_u32_e32 v192, 0x78, v176
	;; [unrolled: 1-line block ×3, first 2 shown]
                                        ; implicit-def: $vgpr0
                                        ; implicit-def: $vgpr2_vgpr3
; %bb.11:
	s_andn2_saveexec_b64 s[10:11], s[10:11]
	s_cbranch_execz .LBB0_13
; %bb.12:
	s_add_u32 s12, s12, s16
	s_addc_u32 s13, s13, s17
	s_load_dwordx2 s[12:13], s[12:13], 0x0
	s_mov_b32 s14, 0x4444445
	v_mov_b32_e32 v131, 0
	v_mov_b32_e32 v9, v131
	s_waitcnt lgkmcnt(0)
	v_mul_lo_u32 v1, s13, v210
	v_mul_lo_u32 v6, s12, v211
	v_mad_u64_u32 v[4:5], s[12:13], s12, v210, 0
	v_add3_u32 v5, v5, v6, v1
	v_mul_hi_u32 v1, v0, s14
	v_mul_u32_u24_e32 v1, 60, v1
	v_sub_u32_e32 v176, v0, v1
	v_lshl_add_u64 v[0:1], v[4:5], 4, s[4:5]
	v_lshl_add_u64 v[128:129], v[2:3], 4, v[0:1]
	v_lshlrev_b32_e32 v130, 4, v176
	v_lshl_add_u64 v[140:141], v[128:129], 0, v[130:131]
	s_movk_i32 s4, 0x1000
	v_add_co_u32_e32 v40, vcc, s4, v140
	s_movk_i32 s5, 0x2000
	s_nop 0
	v_addc_co_u32_e32 v41, vcc, 0, v141, vcc
	v_add_co_u32_e32 v102, vcc, s5, v140
	s_movk_i32 s4, 0x3000
	s_nop 0
	v_addc_co_u32_e32 v103, vcc, 0, v141, vcc
	;; [unrolled: 4-line block ×6, first 2 shown]
	v_or_b32_e32 v8, 0x3c00, v130
	v_add_u32_e32 v144, 0, v130
	v_add_co_u32_e32 v136, vcc, s4, v140
	v_or_b32_e32 v130, 0x7800, v130
	v_lshl_add_u64 v[100:101], v[128:129], 0, v[8:9]
	v_addc_co_u32_e32 v137, vcc, 0, v141, vcc
	v_lshl_add_u64 v[128:129], v[128:129], 0, v[130:131]
	global_load_dwordx4 v[0:3], v[140:141], off
	global_load_dwordx4 v[4:7], v[140:141], off offset:960
	global_load_dwordx4 v[8:11], v[140:141], off offset:1920
	;; [unrolled: 1-line block ×9, first 2 shown]
	s_nop 0
	global_load_dwordx4 v[40:43], v[102:103], off offset:1408
	global_load_dwordx4 v[44:47], v[102:103], off offset:2368
	global_load_dwordx4 v[48:51], v[100:101], off
	global_load_dwordx4 v[52:55], v[104:105], off offset:4032
	global_load_dwordx4 v[56:59], v[102:103], off offset:3328
	global_load_dwordx4 v[60:63], v[104:105], off offset:192
	global_load_dwordx4 v[64:67], v[104:105], off offset:1152
	global_load_dwordx4 v[68:71], v[104:105], off offset:2112
	global_load_dwordx4 v[72:75], v[106:107], off offset:896
	global_load_dwordx4 v[76:79], v[106:107], off offset:1856
	global_load_dwordx4 v[80:83], v[106:107], off offset:2816
	global_load_dwordx4 v[84:87], v[106:107], off offset:3776
	global_load_dwordx4 v[88:91], v[108:109], off offset:640
	global_load_dwordx4 v[92:95], v[108:109], off offset:1600
	global_load_dwordx4 v[96:99], v[108:109], off offset:2560
                                        ; kill: killed $vgpr102 killed $vgpr103
                                        ; kill: killed $vgpr106 killed $vgpr107
                                        ; kill: killed $vgpr100_vgpr101
                                        ; kill: killed $vgpr104 killed $vgpr105
	s_nop 0
	global_load_dwordx4 v[100:103], v[108:109], off offset:3520
	global_load_dwordx4 v[104:107], v[116:117], off offset:384
	s_nop 0
	global_load_dwordx4 v[108:111], v[116:117], off offset:1344
	global_load_dwordx4 v[112:115], v[116:117], off offset:2304
	s_nop 0
	global_load_dwordx4 v[116:119], v[116:117], off offset:3264
	s_nop 0
	global_load_dwordx4 v[120:123], v[136:137], off offset:128
	global_load_dwordx4 v[124:127], v[136:137], off offset:1088
	s_nop 0
	global_load_dwordx4 v[128:131], v[128:129], off
	s_nop 0
	global_load_dwordx4 v[132:135], v[136:137], off offset:3008
	s_nop 0
	global_load_dwordx4 v[136:139], v[136:137], off offset:3968
	v_add_co_u32_e32 v140, vcc, 0x8000, v140
	v_add_u32_e32 v180, 60, v176
	s_nop 0
	v_addc_co_u32_e32 v141, vcc, 0, v141, vcc
	global_load_dwordx4 v[140:143], v[140:141], off offset:832
	v_add_u32_e32 v192, 0x78, v176
	v_add_u32_e32 v188, 0xb4, v176
	s_waitcnt vmcnt(35)
	ds_write_b128 v144, v[0:3]
	s_waitcnt vmcnt(34)
	ds_write_b128 v144, v[4:7] offset:960
	s_waitcnt vmcnt(33)
	ds_write_b128 v144, v[8:11] offset:1920
	;; [unrolled: 2-line block ×5, first 2 shown]
	ds_write_b128 v144, v[20:23] offset:4800
	ds_write_b128 v144, v[24:27] offset:5760
	;; [unrolled: 1-line block ×7, first 2 shown]
	s_waitcnt vmcnt(21)
	ds_write_b128 v144, v[56:59] offset:11520
	s_waitcnt vmcnt(20)
	ds_write_b128 v144, v[60:63] offset:12480
	;; [unrolled: 2-line block ×4, first 2 shown]
	ds_write_b128 v144, v[52:55] offset:16320
	s_waitcnt vmcnt(17)
	ds_write_b128 v144, v[72:75] offset:17280
	s_waitcnt vmcnt(16)
	;; [unrolled: 2-line block ×18, first 2 shown]
	ds_write_b128 v144, v[140:143] offset:33600
.LBB0_13:
	s_or_b64 exec, exec, s[10:11]
	v_lshl_add_u32 v228, v176, 4, 0
	s_load_dwordx2 s[2:3], s[2:3], 0x0
	s_waitcnt lgkmcnt(0)
	; wave barrier
	s_waitcnt lgkmcnt(0)
	ds_read_b128 v[68:71], v228
	ds_read_b128 v[48:51], v228 offset:960
	ds_read_b128 v[54:57], v228 offset:3456
	;; [unrolled: 1-line block ×28, first 2 shown]
	s_waitcnt lgkmcnt(14)
	v_add_f64 v[52:53], v[68:69], v[118:119]
	v_add_f64 v[52:53], v[52:53], v[122:123]
	;; [unrolled: 1-line block ×3, first 2 shown]
	s_waitcnt lgkmcnt(12)
	v_add_f64 v[64:65], v[52:53], v[130:131]
	v_add_f64 v[52:53], v[122:123], v[126:127]
	s_mov_b32 s10, 0x134454ff
	v_fma_f64 v[62:63], -0.5, v[52:53], v[68:69]
	v_add_f64 v[52:53], v[120:121], -v[132:133]
	s_mov_b32 s11, 0x3fee6f0e
	s_mov_b32 s4, 0x4755a5e
	;; [unrolled: 1-line block ×4, first 2 shown]
	v_fma_f64 v[66:67], s[10:11], v[52:53], v[62:63]
	v_add_f64 v[72:73], v[124:125], -v[128:129]
	s_mov_b32 s5, 0x3fe2cf23
	v_add_f64 v[74:75], v[118:119], -v[122:123]
	v_add_f64 v[76:77], v[130:131], -v[126:127]
	s_mov_b32 s12, 0x372fe950
	v_fmac_f64_e32 v[62:63], s[14:15], v[52:53]
	s_mov_b32 s17, 0xbfe2cf23
	s_mov_b32 s16, s4
	v_fmac_f64_e32 v[66:67], s[4:5], v[72:73]
	v_add_f64 v[74:75], v[74:75], v[76:77]
	s_mov_b32 s13, 0x3fd3c6ef
	v_fmac_f64_e32 v[62:63], s[16:17], v[72:73]
	v_fmac_f64_e32 v[66:67], s[12:13], v[74:75]
	;; [unrolled: 1-line block ×3, first 2 shown]
	v_add_f64 v[74:75], v[118:119], v[130:131]
	v_fmac_f64_e32 v[68:69], -0.5, v[74:75]
	v_fma_f64 v[76:77], s[14:15], v[72:73], v[68:69]
	v_fmac_f64_e32 v[68:69], s[10:11], v[72:73]
	v_fmac_f64_e32 v[76:77], s[4:5], v[52:53]
	;; [unrolled: 1-line block ×3, first 2 shown]
	v_add_f64 v[52:53], v[70:71], v[120:121]
	v_add_f64 v[74:75], v[122:123], -v[118:119]
	v_add_f64 v[78:79], v[126:127], -v[130:131]
	v_add_f64 v[52:53], v[52:53], v[124:125]
	v_add_f64 v[74:75], v[74:75], v[78:79]
	;; [unrolled: 1-line block ×3, first 2 shown]
	v_fmac_f64_e32 v[76:77], s[12:13], v[74:75]
	v_fmac_f64_e32 v[68:69], s[12:13], v[74:75]
	v_add_f64 v[74:75], v[52:53], v[132:133]
	v_add_f64 v[52:53], v[124:125], v[128:129]
	v_fma_f64 v[116:117], -0.5, v[52:53], v[70:71]
	v_add_f64 v[52:53], v[118:119], -v[130:131]
	v_fma_f64 v[78:79], s[14:15], v[52:53], v[116:117]
	v_add_f64 v[72:73], v[122:123], -v[126:127]
	v_add_f64 v[118:119], v[120:121], -v[124:125]
	;; [unrolled: 1-line block ×3, first 2 shown]
	v_fmac_f64_e32 v[116:117], s[10:11], v[52:53]
	v_fmac_f64_e32 v[78:79], s[16:17], v[72:73]
	v_add_f64 v[118:119], v[118:119], v[122:123]
	v_fmac_f64_e32 v[116:117], s[4:5], v[72:73]
	v_fmac_f64_e32 v[78:79], s[12:13], v[118:119]
	;; [unrolled: 1-line block ×3, first 2 shown]
	v_add_f64 v[118:119], v[120:121], v[132:133]
	v_fmac_f64_e32 v[70:71], -0.5, v[118:119]
	v_fma_f64 v[118:119], s[10:11], v[72:73], v[70:71]
	v_fmac_f64_e32 v[70:71], s[14:15], v[72:73]
	v_fmac_f64_e32 v[118:119], s[16:17], v[52:53]
	;; [unrolled: 1-line block ×3, first 2 shown]
	v_add_f64 v[52:53], v[54:55], v[36:37]
	v_add_f64 v[52:53], v[52:53], v[40:41]
	v_add_f64 v[120:121], v[124:125], -v[120:121]
	v_add_f64 v[122:123], v[128:129], -v[132:133]
	v_add_f64 v[52:53], v[52:53], v[44:45]
	v_add_f64 v[120:121], v[120:121], v[122:123]
	s_waitcnt lgkmcnt(10)
	v_add_f64 v[72:73], v[52:53], v[58:59]
	v_add_f64 v[52:53], v[40:41], v[44:45]
	v_fmac_f64_e32 v[118:119], s[12:13], v[120:121]
	v_fmac_f64_e32 v[70:71], s[12:13], v[120:121]
	v_fma_f64 v[120:121], -0.5, v[52:53], v[54:55]
	v_add_f64 v[52:53], v[38:39], -v[60:61]
	v_fma_f64 v[122:123], s[10:11], v[52:53], v[120:121]
	v_add_f64 v[124:125], v[42:43], -v[46:47]
	v_add_f64 v[126:127], v[36:37], -v[40:41]
	;; [unrolled: 1-line block ×3, first 2 shown]
	v_fmac_f64_e32 v[120:121], s[14:15], v[52:53]
	v_fmac_f64_e32 v[122:123], s[4:5], v[124:125]
	v_add_f64 v[126:127], v[126:127], v[128:129]
	v_fmac_f64_e32 v[120:121], s[16:17], v[124:125]
	v_fmac_f64_e32 v[122:123], s[12:13], v[126:127]
	v_fmac_f64_e32 v[120:121], s[12:13], v[126:127]
	v_add_f64 v[126:127], v[36:37], v[58:59]
	v_fmac_f64_e32 v[54:55], -0.5, v[126:127]
	v_fma_f64 v[126:127], s[14:15], v[124:125], v[54:55]
	v_fmac_f64_e32 v[54:55], s[10:11], v[124:125]
	v_fmac_f64_e32 v[126:127], s[4:5], v[52:53]
	v_fmac_f64_e32 v[54:55], s[16:17], v[52:53]
	v_add_f64 v[52:53], v[56:57], v[38:39]
	v_add_f64 v[52:53], v[52:53], v[42:43]
	v_add_f64 v[128:129], v[40:41], -v[36:37]
	v_add_f64 v[130:131], v[44:45], -v[58:59]
	v_add_f64 v[52:53], v[52:53], v[46:47]
	v_add_f64 v[128:129], v[128:129], v[130:131]
	;; [unrolled: 1-line block ×4, first 2 shown]
	v_fmac_f64_e32 v[126:127], s[12:13], v[128:129]
	v_fmac_f64_e32 v[54:55], s[12:13], v[128:129]
	v_fma_f64 v[128:129], -0.5, v[52:53], v[56:57]
	v_add_f64 v[36:37], v[36:37], -v[58:59]
	v_fma_f64 v[58:59], s[14:15], v[36:37], v[128:129]
	v_add_f64 v[40:41], v[40:41], -v[44:45]
	v_add_f64 v[44:45], v[38:39], -v[42:43]
	;; [unrolled: 1-line block ×3, first 2 shown]
	v_fmac_f64_e32 v[128:129], s[10:11], v[36:37]
	v_fmac_f64_e32 v[58:59], s[16:17], v[40:41]
	v_add_f64 v[44:45], v[44:45], v[52:53]
	v_fmac_f64_e32 v[128:129], s[4:5], v[40:41]
	v_fmac_f64_e32 v[58:59], s[12:13], v[44:45]
	;; [unrolled: 1-line block ×3, first 2 shown]
	v_add_f64 v[44:45], v[38:39], v[60:61]
	v_fmac_f64_e32 v[56:57], -0.5, v[44:45]
	v_fma_f64 v[130:131], s[10:11], v[40:41], v[56:57]
	v_add_f64 v[38:39], v[42:43], -v[38:39]
	v_add_f64 v[42:43], v[46:47], -v[60:61]
	v_fmac_f64_e32 v[130:131], s[16:17], v[36:37]
	v_add_f64 v[38:39], v[38:39], v[42:43]
	v_fmac_f64_e32 v[56:57], s[14:15], v[40:41]
	v_fmac_f64_e32 v[130:131], s[12:13], v[38:39]
	;; [unrolled: 1-line block ×3, first 2 shown]
	s_mov_b32 s18, 0x9b97f4a8
	v_fmac_f64_e32 v[56:57], s[12:13], v[38:39]
	s_mov_b32 s19, 0x3fe9e377
	v_mul_f64 v[132:133], v[130:131], s[10:11]
	v_mul_f64 v[38:39], v[54:55], s[12:13]
	;; [unrolled: 1-line block ×3, first 2 shown]
	v_fmac_f64_e32 v[132:133], s[12:13], v[126:127]
	v_fma_f64 v[134:135], v[56:57], s[10:11], -v[38:39]
	v_mul_f64 v[38:39], v[120:121], s[18:19]
	v_mul_f64 v[126:127], v[126:127], s[14:15]
	v_fmac_f64_e32 v[60:61], s[4:5], v[58:59]
	v_mul_f64 v[122:123], v[122:123], s[16:17]
	v_fma_f64 v[136:137], v[128:129], s[4:5], -v[38:39]
	v_fmac_f64_e32 v[126:127], s[12:13], v[130:131]
	v_mul_f64 v[38:39], v[56:57], s[12:13]
	v_add_f64 v[44:45], v[64:65], v[72:73]
	v_add_f64 v[40:41], v[66:67], v[60:61]
	;; [unrolled: 1-line block ×4, first 2 shown]
	v_fmac_f64_e32 v[122:123], s[18:19], v[58:59]
	v_fma_f64 v[130:131], v[54:55], s[14:15], -v[38:39]
	v_add_f64 v[56:57], v[62:63], v[136:137]
	v_add_f64 v[38:39], v[118:119], v[126:127]
	v_mul_f64 v[58:59], v[128:129], s[18:19]
	v_add_f64 v[72:73], v[64:65], -v[72:73]
	v_add_f64 v[64:65], v[66:67], -v[60:61]
	;; [unrolled: 1-line block ×6, first 2 shown]
	v_add_f64 v[118:119], v[104:105], v[108:109]
	v_add_f64 v[42:43], v[78:79], v[122:123]
	v_fma_f64 v[120:121], v[120:121], s[16:17], -v[58:59]
	v_add_f64 v[66:67], v[78:79], -v[122:123]
	v_fma_f64 v[118:119], -0.5, v[118:119], v[48:49]
	v_add_f64 v[122:123], v[102:103], -v[114:115]
	v_add_f64 v[46:47], v[74:75], v[124:125]
	v_add_f64 v[54:55], v[70:71], v[130:131]
	;; [unrolled: 1-line block ×3, first 2 shown]
	v_add_f64 v[74:75], v[74:75], -v[124:125]
	v_add_f64 v[78:79], v[70:71], -v[130:131]
	;; [unrolled: 1-line block ×3, first 2 shown]
	v_fma_f64 v[120:121], s[10:11], v[122:123], v[118:119]
	v_add_f64 v[124:125], v[106:107], -v[110:111]
	v_add_f64 v[126:127], v[100:101], -v[104:105]
	;; [unrolled: 1-line block ×3, first 2 shown]
	v_fmac_f64_e32 v[118:119], s[14:15], v[122:123]
	v_fmac_f64_e32 v[120:121], s[4:5], v[124:125]
	v_add_f64 v[126:127], v[126:127], v[128:129]
	v_fmac_f64_e32 v[118:119], s[16:17], v[124:125]
	v_fmac_f64_e32 v[120:121], s[12:13], v[126:127]
	;; [unrolled: 1-line block ×3, first 2 shown]
	v_add_f64 v[126:127], v[100:101], v[112:113]
	v_add_f64 v[116:117], v[48:49], v[100:101]
	v_fmac_f64_e32 v[48:49], -0.5, v[126:127]
	v_add_f64 v[116:117], v[116:117], v[104:105]
	v_fma_f64 v[128:129], s[14:15], v[124:125], v[48:49]
	v_add_f64 v[126:127], v[104:105], -v[100:101]
	v_add_f64 v[130:131], v[108:109], -v[112:113]
	v_fmac_f64_e32 v[48:49], s[10:11], v[124:125]
	v_add_f64 v[124:125], v[106:107], v[110:111]
	v_add_f64 v[116:117], v[116:117], v[108:109]
	v_fmac_f64_e32 v[128:129], s[4:5], v[122:123]
	v_add_f64 v[126:127], v[126:127], v[130:131]
	v_fmac_f64_e32 v[48:49], s[16:17], v[122:123]
	v_fma_f64 v[124:125], -0.5, v[124:125], v[50:51]
	v_add_f64 v[100:101], v[100:101], -v[112:113]
	v_add_f64 v[116:117], v[116:117], v[112:113]
	v_fmac_f64_e32 v[128:129], s[12:13], v[126:127]
	v_fmac_f64_e32 v[48:49], s[12:13], v[126:127]
	v_fma_f64 v[126:127], s[14:15], v[100:101], v[124:125]
	v_add_f64 v[104:105], v[104:105], -v[108:109]
	v_add_f64 v[108:109], v[102:103], -v[106:107]
	;; [unrolled: 1-line block ×3, first 2 shown]
	v_fmac_f64_e32 v[124:125], s[10:11], v[100:101]
	v_fmac_f64_e32 v[126:127], s[16:17], v[104:105]
	v_add_f64 v[108:109], v[108:109], v[112:113]
	v_fmac_f64_e32 v[124:125], s[4:5], v[104:105]
	v_fmac_f64_e32 v[126:127], s[12:13], v[108:109]
	;; [unrolled: 1-line block ×3, first 2 shown]
	v_add_f64 v[108:109], v[102:103], v[114:115]
	v_add_f64 v[122:123], v[50:51], v[102:103]
	v_fmac_f64_e32 v[50:51], -0.5, v[108:109]
	v_fma_f64 v[130:131], s[10:11], v[104:105], v[50:51]
	v_fmac_f64_e32 v[50:51], s[14:15], v[104:105]
	v_fmac_f64_e32 v[130:131], s[16:17], v[100:101]
	;; [unrolled: 1-line block ×3, first 2 shown]
	v_add_f64 v[100:101], v[80:81], v[84:85]
	v_add_f64 v[100:101], v[100:101], v[88:89]
	;; [unrolled: 1-line block ×3, first 2 shown]
	v_add_f64 v[102:103], v[106:107], -v[102:103]
	v_add_f64 v[106:107], v[110:111], -v[114:115]
	v_add_f64 v[100:101], v[100:101], v[92:93]
	v_add_f64 v[102:103], v[102:103], v[106:107]
	s_waitcnt lgkmcnt(9)
	v_add_f64 v[104:105], v[100:101], v[96:97]
	v_add_f64 v[100:101], v[88:89], v[92:93]
	v_fmac_f64_e32 v[130:131], s[12:13], v[102:103]
	v_fmac_f64_e32 v[50:51], s[12:13], v[102:103]
	v_fma_f64 v[102:103], -0.5, v[100:101], v[80:81]
	v_add_f64 v[100:101], v[86:87], -v[98:99]
	v_add_f64 v[122:123], v[122:123], v[110:111]
	v_fma_f64 v[106:107], s[10:11], v[100:101], v[102:103]
	v_add_f64 v[108:109], v[90:91], -v[94:95]
	v_add_f64 v[110:111], v[84:85], -v[88:89]
	;; [unrolled: 1-line block ×3, first 2 shown]
	v_fmac_f64_e32 v[102:103], s[14:15], v[100:101]
	v_fmac_f64_e32 v[106:107], s[4:5], v[108:109]
	v_add_f64 v[110:111], v[110:111], v[112:113]
	v_fmac_f64_e32 v[102:103], s[16:17], v[108:109]
	v_fmac_f64_e32 v[106:107], s[12:13], v[110:111]
	;; [unrolled: 1-line block ×3, first 2 shown]
	v_add_f64 v[110:111], v[84:85], v[96:97]
	v_fmac_f64_e32 v[80:81], -0.5, v[110:111]
	v_fma_f64 v[110:111], s[14:15], v[108:109], v[80:81]
	v_fmac_f64_e32 v[80:81], s[10:11], v[108:109]
	v_fmac_f64_e32 v[110:111], s[4:5], v[100:101]
	;; [unrolled: 1-line block ×3, first 2 shown]
	v_add_f64 v[100:101], v[82:83], v[86:87]
	v_add_f64 v[100:101], v[100:101], v[90:91]
	;; [unrolled: 1-line block ×3, first 2 shown]
	v_add_f64 v[112:113], v[88:89], -v[84:85]
	v_add_f64 v[114:115], v[92:93], -v[96:97]
	v_add_f64 v[100:101], v[100:101], v[94:95]
	v_add_f64 v[112:113], v[112:113], v[114:115]
	;; [unrolled: 1-line block ×4, first 2 shown]
	v_fma_f64 v[108:109], -0.5, v[100:101], v[82:83]
	v_add_f64 v[84:85], v[84:85], -v[96:97]
	v_fma_f64 v[100:101], s[14:15], v[84:85], v[108:109]
	v_add_f64 v[88:89], v[88:89], -v[92:93]
	v_add_f64 v[92:93], v[86:87], -v[90:91]
	;; [unrolled: 1-line block ×3, first 2 shown]
	v_fmac_f64_e32 v[108:109], s[10:11], v[84:85]
	v_fmac_f64_e32 v[100:101], s[16:17], v[88:89]
	v_add_f64 v[92:93], v[92:93], v[96:97]
	v_fmac_f64_e32 v[108:109], s[4:5], v[88:89]
	v_fmac_f64_e32 v[100:101], s[12:13], v[92:93]
	;; [unrolled: 1-line block ×3, first 2 shown]
	v_add_f64 v[92:93], v[86:87], v[98:99]
	v_fmac_f64_e32 v[82:83], -0.5, v[92:93]
	v_fmac_f64_e32 v[110:111], s[12:13], v[112:113]
	v_fmac_f64_e32 v[80:81], s[12:13], v[112:113]
	v_fma_f64 v[112:113], s[10:11], v[88:89], v[82:83]
	v_add_f64 v[86:87], v[90:91], -v[86:87]
	v_add_f64 v[90:91], v[94:95], -v[98:99]
	v_fmac_f64_e32 v[112:113], s[16:17], v[84:85]
	v_add_f64 v[86:87], v[86:87], v[90:91]
	v_fmac_f64_e32 v[82:83], s[14:15], v[88:89]
	v_fmac_f64_e32 v[112:113], s[12:13], v[86:87]
	;; [unrolled: 1-line block ×4, first 2 shown]
	v_mul_f64 v[132:133], v[106:107], s[18:19]
	v_mul_f64 v[134:135], v[112:113], s[10:11]
	;; [unrolled: 1-line block ×3, first 2 shown]
	v_fmac_f64_e32 v[132:133], s[4:5], v[100:101]
	v_fmac_f64_e32 v[134:135], s[12:13], v[110:111]
	v_fma_f64 v[136:137], v[82:83], s[10:11], -v[86:87]
	v_mul_f64 v[86:87], v[102:103], s[18:19]
	v_mul_f64 v[82:83], v[82:83], s[12:13]
	v_add_f64 v[92:93], v[116:117], v[104:105]
	v_add_f64 v[88:89], v[120:121], v[132:133]
	;; [unrolled: 1-line block ×3, first 2 shown]
	v_fma_f64 v[138:139], v[108:109], s[4:5], -v[86:87]
	v_fma_f64 v[80:81], v[80:81], s[14:15], -v[82:83]
	v_mul_f64 v[82:83], v[108:109], s[18:19]
	v_add_f64 v[116:117], v[116:117], -v[104:105]
	v_add_f64 v[108:109], v[120:121], -v[132:133]
	;; [unrolled: 1-line block ×3, first 2 shown]
	ds_read_b128 v[132:135], v228 offset:8832
	v_mul_f64 v[106:107], v[106:107], s[16:17]
	v_mul_f64 v[140:141], v[110:111], s[14:15]
	s_waitcnt lgkmcnt(7)
	v_add_f64 v[128:129], v[28:29], v[24:25]
	v_add_f64 v[96:97], v[48:49], v[136:137]
	v_fmac_f64_e32 v[106:107], s[18:19], v[100:101]
	v_fmac_f64_e32 v[140:141], s[12:13], v[112:113]
	v_add_f64 v[100:101], v[118:119], v[138:139]
	v_add_f64 v[94:95], v[122:123], v[114:115]
	v_add_f64 v[98:99], v[50:51], v[80:81]
	v_add_f64 v[120:121], v[48:49], -v[136:137]
	v_add_f64 v[112:113], v[118:119], -v[138:139]
	;; [unrolled: 1-line block ×4, first 2 shown]
	ds_read_b128 v[48:51], v228 offset:9792
	s_waitcnt lgkmcnt(5)
	v_fma_f64 v[160:161], -0.5, v[128:129], v[8:9]
	s_waitcnt lgkmcnt(1)
	v_add_f64 v[138:139], v[134:135], -v[34:35]
	v_add_f64 v[90:91], v[126:127], v[106:107]
	v_add_f64 v[86:87], v[130:131], v[140:141]
	v_add_f64 v[110:111], v[126:127], -v[106:107]
	v_add_f64 v[106:107], v[130:131], -v[140:141]
	v_fma_f64 v[152:153], s[10:11], v[138:139], v[160:161]
	v_add_f64 v[140:141], v[30:31], -v[26:27]
	v_add_f64 v[142:143], v[132:133], -v[28:29]
	;; [unrolled: 1-line block ×3, first 2 shown]
	v_fmac_f64_e32 v[160:161], s[14:15], v[138:139]
	v_fmac_f64_e32 v[152:153], s[4:5], v[140:141]
	v_add_f64 v[142:143], v[142:143], v[144:145]
	v_fmac_f64_e32 v[160:161], s[16:17], v[140:141]
	v_fmac_f64_e32 v[152:153], s[12:13], v[142:143]
	;; [unrolled: 1-line block ×3, first 2 shown]
	v_add_f64 v[142:143], v[132:133], v[32:33]
	v_add_f64 v[136:137], v[8:9], v[132:133]
	v_fmac_f64_e32 v[8:9], -0.5, v[142:143]
	v_fma_f64 v[154:155], s[14:15], v[140:141], v[8:9]
	v_add_f64 v[142:143], v[28:29], -v[132:133]
	v_add_f64 v[144:145], v[24:25], -v[32:33]
	v_fmac_f64_e32 v[8:9], s[10:11], v[140:141]
	v_add_f64 v[140:141], v[30:31], v[26:27]
	v_fmac_f64_e32 v[154:155], s[4:5], v[138:139]
	v_add_f64 v[142:143], v[142:143], v[144:145]
	v_fmac_f64_e32 v[8:9], s[16:17], v[138:139]
	v_fma_f64 v[162:163], -0.5, v[140:141], v[10:11]
	v_add_f64 v[132:133], v[132:133], -v[32:33]
	v_add_f64 v[140:141], v[28:29], -v[24:25]
	v_add_f64 v[28:29], v[136:137], v[28:29]
	v_fma_f64 v[82:83], v[102:103], s[16:17], -v[82:83]
	v_fmac_f64_e32 v[154:155], s[12:13], v[142:143]
	v_fmac_f64_e32 v[8:9], s[12:13], v[142:143]
	v_add_f64 v[138:139], v[10:11], v[134:135]
	v_fma_f64 v[156:157], s[14:15], v[132:133], v[162:163]
	v_add_f64 v[142:143], v[134:135], -v[30:31]
	v_add_f64 v[144:145], v[34:35], -v[26:27]
	v_fmac_f64_e32 v[162:163], s[10:11], v[132:133]
	v_add_f64 v[24:25], v[28:29], v[24:25]
	v_add_f64 v[102:103], v[124:125], v[82:83]
	v_add_f64 v[114:115], v[124:125], -v[82:83]
	ds_read_b128 v[80:83], v228 offset:16704
	ds_read_b128 v[124:127], v228 offset:23616
	v_fmac_f64_e32 v[156:157], s[16:17], v[140:141]
	v_add_f64 v[142:143], v[142:143], v[144:145]
	v_fmac_f64_e32 v[162:163], s[4:5], v[140:141]
	v_add_f64 v[148:149], v[24:25], v[32:33]
	v_add_f64 v[24:25], v[138:139], v[30:31]
	ds_read_b128 v[136:139], v228 offset:12288
	v_fmac_f64_e32 v[156:157], s[12:13], v[142:143]
	v_fmac_f64_e32 v[162:163], s[12:13], v[142:143]
	v_add_f64 v[142:143], v[134:135], v[34:35]
	v_fmac_f64_e32 v[10:11], -0.5, v[142:143]
	v_add_f64 v[24:25], v[24:25], v[26:27]
	v_add_f64 v[150:151], v[24:25], v[34:35]
	v_add_f64 v[24:25], v[30:31], -v[134:135]
	v_fma_f64 v[164:165], s[10:11], v[140:141], v[10:11]
	v_add_f64 v[26:27], v[26:27], -v[34:35]
	v_fmac_f64_e32 v[10:11], s[14:15], v[140:141]
	v_fmac_f64_e32 v[164:165], s[16:17], v[132:133]
	v_add_f64 v[24:25], v[24:25], v[26:27]
	v_fmac_f64_e32 v[10:11], s[4:5], v[132:133]
	v_fmac_f64_e32 v[164:165], s[12:13], v[24:25]
	;; [unrolled: 1-line block ×3, first 2 shown]
	ds_read_b128 v[24:27], v228 offset:13248
	s_waitcnt lgkmcnt(1)
	v_add_f64 v[32:33], v[12:13], v[136:137]
	ds_read_b128 v[128:131], v228 offset:30528
	ds_read_b128 v[28:31], v228 offset:20160
	v_add_f64 v[132:133], v[32:33], v[20:21]
	ds_read_b128 v[32:35], v228 offset:27072
	ds_read_b128 v[140:143], v228 offset:33024
	v_add_f64 v[144:145], v[132:133], v[16:17]
	v_add_f64 v[132:133], v[20:21], v[16:17]
	v_fma_f64 v[166:167], -0.5, v[132:133], v[12:13]
	v_add_f64 v[168:169], v[22:23], -v[18:19]
	s_waitcnt lgkmcnt(0)
	v_add_f64 v[146:147], v[138:139], -v[142:143]
	v_fma_f64 v[158:159], s[10:11], v[146:147], v[166:167]
	v_add_f64 v[170:171], v[136:137], -v[20:21]
	v_add_f64 v[172:173], v[140:141], -v[16:17]
	v_fmac_f64_e32 v[166:167], s[14:15], v[146:147]
	v_fmac_f64_e32 v[158:159], s[4:5], v[168:169]
	v_add_f64 v[170:171], v[170:171], v[172:173]
	v_fmac_f64_e32 v[166:167], s[16:17], v[168:169]
	v_fmac_f64_e32 v[158:159], s[12:13], v[170:171]
	;; [unrolled: 1-line block ×3, first 2 shown]
	v_add_f64 v[170:171], v[136:137], v[140:141]
	v_fmac_f64_e32 v[12:13], -0.5, v[170:171]
	v_fma_f64 v[170:171], s[14:15], v[168:169], v[12:13]
	v_fmac_f64_e32 v[12:13], s[10:11], v[168:169]
	v_fmac_f64_e32 v[170:171], s[4:5], v[146:147]
	;; [unrolled: 1-line block ×3, first 2 shown]
	v_add_f64 v[146:147], v[14:15], v[138:139]
	v_add_f64 v[172:173], v[20:21], -v[136:137]
	v_add_f64 v[174:175], v[16:17], -v[140:141]
	v_add_f64 v[146:147], v[146:147], v[22:23]
	v_add_f64 v[168:169], v[22:23], v[18:19]
	v_add_f64 v[16:17], v[20:21], -v[16:17]
	v_add_f64 v[20:21], v[138:139], -v[22:23]
	;; [unrolled: 1-line block ×3, first 2 shown]
	v_add_f64 v[138:139], v[138:139], v[142:143]
	v_add_f64 v[172:173], v[172:173], v[174:175]
	v_fma_f64 v[168:169], -0.5, v[168:169], v[14:15]
	v_fmac_f64_e32 v[14:15], -0.5, v[138:139]
	v_fmac_f64_e32 v[170:171], s[12:13], v[172:173]
	v_fmac_f64_e32 v[12:13], s[12:13], v[172:173]
	v_add_f64 v[146:147], v[146:147], v[18:19]
	v_add_f64 v[136:137], v[136:137], -v[140:141]
	v_add_f64 v[172:173], v[142:143], -v[18:19]
	;; [unrolled: 1-line block ×3, first 2 shown]
	v_fma_f64 v[174:175], s[10:11], v[16:17], v[14:15]
	v_fmac_f64_e32 v[14:15], s[14:15], v[16:17]
	v_add_f64 v[20:21], v[20:21], v[172:173]
	v_fma_f64 v[172:173], s[14:15], v[136:137], v[168:169]
	v_fmac_f64_e32 v[168:169], s[10:11], v[136:137]
	v_add_f64 v[18:19], v[22:23], v[18:19]
	v_fmac_f64_e32 v[14:15], s[4:5], v[136:137]
	v_fmac_f64_e32 v[172:173], s[16:17], v[16:17]
	;; [unrolled: 1-line block ×4, first 2 shown]
	v_mul_f64 v[16:17], v[12:13], s[12:13]
	v_fma_f64 v[16:17], v[14:15], s[10:11], -v[16:17]
	v_fmac_f64_e32 v[172:173], s[12:13], v[20:21]
	v_fmac_f64_e32 v[168:169], s[12:13], v[20:21]
	;; [unrolled: 1-line block ×3, first 2 shown]
	v_mul_f64 v[14:15], v[14:15], s[12:13]
	v_add_f64 v[20:21], v[8:9], v[16:17]
	v_add_f64 v[8:9], v[8:9], -v[16:17]
	v_mul_f64 v[16:17], v[158:159], s[18:19]
	v_add_f64 v[140:141], v[144:145], v[140:141]
	v_fmac_f64_e32 v[174:175], s[12:13], v[18:19]
	v_fma_f64 v[12:13], v[12:13], s[14:15], -v[14:15]
	v_fmac_f64_e32 v[16:17], s[4:5], v[172:173]
	v_mul_f64 v[18:19], v[158:159], s[16:17]
	v_add_f64 v[142:143], v[146:147], v[142:143]
	v_add_f64 v[22:23], v[10:11], v[12:13]
	v_add_f64 v[10:11], v[10:11], -v[12:13]
	v_add_f64 v[144:145], v[148:149], v[140:141]
	v_add_f64 v[12:13], v[148:149], -v[140:141]
	v_add_f64 v[148:149], v[152:153], v[16:17]
	v_fmac_f64_e32 v[18:19], s[18:19], v[172:173]
	v_add_f64 v[136:137], v[152:153], -v[16:17]
	v_mul_f64 v[16:17], v[170:171], s[14:15]
	v_add_f64 v[146:147], v[150:151], v[142:143]
	v_add_f64 v[14:15], v[150:151], -v[142:143]
	v_add_f64 v[150:151], v[156:157], v[18:19]
	v_add_f64 v[138:139], v[156:157], -v[18:19]
	v_fmac_f64_e32 v[16:17], s[12:13], v[174:175]
	v_mul_f64 v[18:19], v[166:167], s[18:19]
	v_fma_f64 v[18:19], v[168:169], s[4:5], -v[18:19]
	v_add_f64 v[158:159], v[164:165], v[16:17]
	v_add_f64 v[142:143], v[164:165], -v[16:17]
	v_mul_f64 v[16:17], v[168:169], s[18:19]
	v_add_f64 v[152:153], v[160:161], v[18:19]
	v_fma_f64 v[164:165], v[166:167], s[16:17], -v[16:17]
	v_add_f64 v[16:17], v[160:161], -v[18:19]
	v_mul_u32_u24_e32 v160, 10, v176
	ds_read_b128 v[132:135], v228 offset:33984
	v_lshl_add_u32 v160, v160, 4, 0
	s_waitcnt lgkmcnt(0)
	; wave barrier
	s_waitcnt lgkmcnt(0)
	ds_write_b128 v160, v[44:47]
	ds_write_b128 v160, v[40:43] offset:16
	ds_write_b128 v160, v[36:39] offset:32
	;; [unrolled: 1-line block ×9, first 2 shown]
	v_mul_i32_i24_e32 v36, 10, v180
	v_lshl_add_u32 v36, v36, 4, 0
	v_mul_f64 v[140:141], v[174:175], s[10:11]
	ds_write_b128 v36, v[92:95]
	ds_write_b128 v36, v[88:91] offset:16
	ds_write_b128 v36, v[84:87] offset:32
	;; [unrolled: 1-line block ×9, first 2 shown]
	v_mul_i32_i24_e32 v36, 10, v192
	v_fmac_f64_e32 v[140:141], s[12:13], v[170:171]
	v_lshl_add_u32 v36, v36, 4, 0
	v_cmp_gt_u32_e32 vcc, 36, v176
	v_add_f64 v[156:157], v[154:155], v[140:141]
	v_add_f64 v[140:141], v[154:155], -v[140:141]
	v_add_f64 v[154:155], v[162:163], v[164:165]
	v_add_f64 v[18:19], v[162:163], -v[164:165]
	ds_write_b128 v36, v[144:147]
	ds_write_b128 v36, v[148:151] offset:16
	ds_write_b128 v36, v[156:159] offset:32
	;; [unrolled: 1-line block ×9, first 2 shown]
	s_and_saveexec_b64 s[20:21], vcc
	s_cbranch_execz .LBB0_15
; %bb.14:
	v_add_f64 v[8:9], v[50:51], -v[82:83]
	v_add_f64 v[10:11], v[130:131], -v[126:127]
	v_add_f64 v[10:11], v[8:9], v[10:11]
	v_add_f64 v[8:9], v[82:83], v[126:127]
	v_fma_f64 v[22:23], -0.5, v[8:9], v[6:7]
	v_add_f64 v[8:9], v[24:25], -v[28:29]
	v_add_f64 v[12:13], v[132:133], -v[32:33]
	v_add_f64 v[20:21], v[8:9], v[12:13]
	v_add_f64 v[8:9], v[28:29], v[32:33]
	v_fma_f64 v[38:39], -0.5, v[8:9], v[0:1]
	v_add_f64 v[8:9], v[26:27], -v[30:31]
	v_add_f64 v[12:13], v[134:135], -v[34:35]
	v_add_f64 v[46:47], v[8:9], v[12:13]
	v_add_f64 v[12:13], v[82:83], -v[50:51]
	v_add_f64 v[16:17], v[126:127], -v[130:131]
	v_add_f64 v[16:17], v[12:13], v[16:17]
	v_add_f64 v[12:13], v[50:51], v[130:131]
	v_add_f64 v[18:19], v[48:49], -v[128:129]
	v_fma_f64 v[62:63], -0.5, v[12:13], v[6:7]
	v_add_f64 v[12:13], v[28:29], -v[24:25]
	v_add_f64 v[66:67], v[32:33], -v[132:133]
	v_add_f64 v[6:7], v[6:7], v[50:51]
	v_add_f64 v[14:15], v[80:81], -v[124:125]
	v_fma_f64 v[36:37], s[10:11], v[18:19], v[22:23]
	v_add_f64 v[40:41], v[26:27], -v[134:135]
	v_add_f64 v[66:67], v[12:13], v[66:67]
	v_add_f64 v[12:13], v[24:25], v[132:133]
	v_fmac_f64_e32 v[22:23], s[14:15], v[18:19]
	v_add_f64 v[6:7], v[6:7], v[82:83]
	v_fmac_f64_e32 v[36:37], s[4:5], v[14:15]
	v_fma_f64 v[42:43], s[14:15], v[40:41], v[38:39]
	v_add_f64 v[44:45], v[30:31], -v[34:35]
	v_fma_f64 v[68:69], -0.5, v[12:13], v[0:1]
	v_add_f64 v[12:13], v[30:31], -v[26:27]
	v_add_f64 v[72:73], v[34:35], -v[134:135]
	v_fmac_f64_e32 v[22:23], s[16:17], v[14:15]
	v_fmac_f64_e32 v[38:39], s[10:11], v[40:41]
	v_add_f64 v[6:7], v[6:7], v[126:127]
	v_fmac_f64_e32 v[36:37], s[12:13], v[10:11]
	v_fmac_f64_e32 v[42:43], s[16:17], v[44:45]
	v_add_f64 v[8:9], v[30:31], v[34:35]
	v_fma_f64 v[64:65], s[14:15], v[14:15], v[62:63]
	v_fma_f64 v[70:71], s[10:11], v[44:45], v[68:69]
	v_add_f64 v[72:73], v[12:13], v[72:73]
	v_add_f64 v[12:13], v[26:27], v[134:135]
	v_fmac_f64_e32 v[62:63], s[10:11], v[14:15]
	v_fmac_f64_e32 v[68:69], s[14:15], v[44:45]
	;; [unrolled: 1-line block ×4, first 2 shown]
	v_add_f64 v[44:45], v[6:7], v[130:131]
	v_add_f64 v[6:7], v[48:49], -v[80:81]
	v_add_f64 v[10:11], v[128:129], -v[124:125]
	;; [unrolled: 1-line block ×3, first 2 shown]
	v_fma_f64 v[56:57], -0.5, v[8:9], v[2:3]
	v_fmac_f64_e32 v[64:65], s[4:5], v[18:19]
	v_fma_f64 v[74:75], -0.5, v[12:13], v[2:3]
	v_fmac_f64_e32 v[62:63], s[16:17], v[18:19]
	v_add_f64 v[2:3], v[2:3], v[26:27]
	v_add_f64 v[18:19], v[6:7], v[10:11]
	v_add_f64 v[10:11], v[80:81], -v[48:49]
	v_add_f64 v[14:15], v[124:125], -v[128:129]
	;; [unrolled: 1-line block ×3, first 2 shown]
	v_fma_f64 v[58:59], s[10:11], v[54:55], v[56:57]
	v_fmac_f64_e32 v[56:57], s[14:15], v[54:55]
	v_add_f64 v[2:3], v[2:3], v[30:31]
	v_add_f64 v[6:7], v[80:81], v[124:125]
	;; [unrolled: 1-line block ×4, first 2 shown]
	v_fmac_f64_e32 v[58:59], s[4:5], v[52:53]
	v_fma_f64 v[76:77], s[14:15], v[52:53], v[74:75]
	v_fmac_f64_e32 v[74:75], s[10:11], v[52:53]
	v_fmac_f64_e32 v[56:57], s[16:17], v[52:53]
	v_add_f64 v[2:3], v[2:3], v[34:35]
	v_fma_f64 v[34:35], -0.5, v[6:7], v[4:5]
	v_add_f64 v[30:31], v[50:51], -v[130:131]
	v_fma_f64 v[52:53], -0.5, v[10:11], v[4:5]
	v_add_f64 v[4:5], v[4:5], v[48:49]
	v_add_f64 v[0:1], v[0:1], v[24:25]
	v_fmac_f64_e32 v[58:59], s[12:13], v[46:47]
	v_fmac_f64_e32 v[76:77], s[4:5], v[54:55]
	;; [unrolled: 1-line block ×4, first 2 shown]
	v_fma_f64 v[46:47], s[14:15], v[30:31], v[34:35]
	v_add_f64 v[50:51], v[82:83], -v[126:127]
	v_fmac_f64_e32 v[34:35], s[10:11], v[30:31]
	v_add_f64 v[4:5], v[4:5], v[80:81]
	v_add_f64 v[0:1], v[0:1], v[28:29]
	v_fmac_f64_e32 v[70:71], s[16:17], v[40:41]
	v_fmac_f64_e32 v[76:77], s[12:13], v[72:73]
	;; [unrolled: 1-line block ×4, first 2 shown]
	v_mul_f64 v[40:41], v[38:39], s[16:17]
	v_fmac_f64_e32 v[34:35], s[4:5], v[50:51]
	v_mul_f64 v[38:39], v[38:39], s[18:19]
	v_add_f64 v[4:5], v[4:5], v[124:125]
	v_add_f64 v[0:1], v[0:1], v[32:33]
	v_fmac_f64_e32 v[42:43], s[12:13], v[20:21]
	v_mul_f64 v[8:9], v[58:59], s[18:19]
	v_fmac_f64_e32 v[70:71], s[12:13], v[66:67]
	v_mul_f64 v[12:13], v[76:77], s[12:13]
	v_fmac_f64_e32 v[74:75], s[12:13], v[72:73]
	v_fmac_f64_e32 v[68:69], s[12:13], v[66:67]
	;; [unrolled: 1-line block ×3, first 2 shown]
	v_fma_f64 v[54:55], s[10:11], v[50:51], v[52:53]
	v_fmac_f64_e32 v[52:53], s[14:15], v[50:51]
	v_fmac_f64_e32 v[34:35], s[12:13], v[18:19]
	;; [unrolled: 1-line block ×3, first 2 shown]
	v_add_f64 v[4:5], v[4:5], v[128:129]
	v_add_f64 v[48:49], v[0:1], v[132:133]
	v_fma_f64 v[60:61], v[42:43], s[16:17], -v[8:9]
	v_fma_f64 v[78:79], v[70:71], s[14:15], -v[12:13]
	v_mul_f64 v[66:67], v[68:69], s[14:15]
	v_fmac_f64_e32 v[40:41], s[18:19], v[56:57]
	v_add_f64 v[26:27], v[2:3], v[134:135]
	v_fmac_f64_e32 v[46:47], s[12:13], v[18:19]
	v_mul_f64 v[6:7], v[42:43], s[18:19]
	v_fmac_f64_e32 v[54:55], s[16:17], v[30:31]
	v_mul_f64 v[10:11], v[70:71], s[12:13]
	;; [unrolled: 2-line block ×3, first 2 shown]
	v_add_f64 v[18:19], v[34:35], -v[38:39]
	v_add_f64 v[0:1], v[4:5], -v[48:49]
	v_add_f64 v[34:35], v[34:35], v[38:39]
	v_add_f64 v[38:39], v[4:5], v[48:49]
	v_mul_i32_i24_e32 v4, 10, v188
	v_add_f64 v[8:9], v[36:37], -v[60:61]
	v_fmac_f64_e32 v[64:65], s[12:13], v[16:17]
	v_fmac_f64_e32 v[62:63], s[12:13], v[16:17]
	;; [unrolled: 1-line block ×3, first 2 shown]
	v_add_f64 v[20:21], v[22:23], -v[40:41]
	v_fma_f64 v[42:43], v[58:59], s[4:5], -v[6:7]
	v_fmac_f64_e32 v[54:55], s[12:13], v[14:15]
	v_fma_f64 v[58:59], v[76:77], s[10:11], -v[10:11]
	v_fmac_f64_e32 v[52:53], s[12:13], v[14:15]
	v_fmac_f64_e32 v[70:71], s[12:13], v[68:69]
	v_add_f64 v[24:25], v[36:37], v[60:61]
	v_add_f64 v[36:37], v[22:23], v[40:41]
	;; [unrolled: 1-line block ×3, first 2 shown]
	v_lshl_add_u32 v4, v4, 4, 0
	v_add_f64 v[12:13], v[64:65], -v[78:79]
	v_add_f64 v[16:17], v[62:63], -v[66:67]
	v_add_f64 v[2:3], v[44:45], -v[26:27]
	v_add_f64 v[6:7], v[46:47], -v[42:43]
	v_add_f64 v[10:11], v[54:55], -v[58:59]
	v_add_f64 v[14:15], v[52:53], -v[70:71]
	v_add_f64 v[28:29], v[64:65], v[78:79]
	v_add_f64 v[32:33], v[62:63], v[66:67]
	;; [unrolled: 1-line block ×5, first 2 shown]
	ds_write_b128 v4, v[38:41]
	ds_write_b128 v4, v[34:37] offset:16
	ds_write_b128 v4, v[30:33] offset:32
	;; [unrolled: 1-line block ×9, first 2 shown]
.LBB0_15:
	s_or_b64 exec, exec, s[20:21]
	s_movk_i32 s4, 0xcd
	v_mul_lo_u16_sdwa v0, v176, s4 dst_sel:DWORD dst_unused:UNUSED_PAD src0_sel:BYTE_0 src1_sel:DWORD
	v_lshrrev_b16_e32 v254, 11, v0
	v_mul_lo_u16_e32 v0, 10, v254
	v_sub_u16_e32 v229, v176, v0
	v_mov_b32_e32 v122, 5
	v_mul_u32_u24_sdwa v0, v229, v122 dst_sel:DWORD dst_unused:UNUSED_PAD src0_sel:BYTE_0 src1_sel:DWORD
	v_lshlrev_b32_e32 v0, 4, v0
	v_accvgpr_write_b32 a12, v177           ;  Reload Reuse
	v_mov_b32_e32 v2, v180
	s_waitcnt lgkmcnt(0)
	; wave barrier
	s_waitcnt lgkmcnt(0)
	v_accvgpr_write_b32 a13, v176           ;  Reload Reuse
	global_load_dwordx4 v[176:179], v0, s[8:9]
	global_load_dwordx4 v[172:175], v0, s[8:9] offset:16
	global_load_dwordx4 v[156:159], v0, s[8:9] offset:32
	v_lshl_add_u32 v108, v180, 4, 0
	ds_read_b128 v[180:183], v228 offset:5760
	ds_read_b128 v[112:115], v228 offset:6720
	global_load_dwordx4 v[148:151], v0, s[8:9] offset:48
	ds_read_b128 v[184:187], v228 offset:11520
	ds_read_b128 v[72:75], v228 offset:12480
	;; [unrolled: 1-line block ×4, first 2 shown]
	global_load_dwordx4 v[140:143], v0, s[8:9] offset:64
	v_mul_lo_u16_sdwa v0, v2, s4 dst_sel:DWORD dst_unused:UNUSED_PAD src0_sel:BYTE_0 src1_sel:DWORD
	v_lshrrev_b16_e32 v213, 11, v0
	v_mul_lo_u16_e32 v0, 10, v213
	v_sub_u16_e32 v225, v2, v0
	v_mul_u32_u24_sdwa v0, v225, v122 dst_sel:DWORD dst_unused:UNUSED_PAD src0_sel:BYTE_0 src1_sel:DWORD
	v_lshlrev_b32_e32 v0, 4, v0
	ds_read_b128 v[206:209], v228 offset:23040
	ds_read_b128 v[104:107], v228 offset:24000
	;; [unrolled: 1-line block ×4, first 2 shown]
	global_load_dwordx4 v[152:155], v0, s[8:9]
	v_lshl_add_u32 v8, v192, 4, 0
	ds_read_b128 v[40:43], v228 offset:7680
	v_mov_b32_e32 v224, v192
	ds_read_b128 v[192:195], v228 offset:8640
	ds_read_b128 v[100:103], v228 offset:13440
	;; [unrolled: 1-line block ×5, first 2 shown]
	global_load_dwordx4 v[116:119], v0, s[8:9] offset:32
	global_load_dwordx4 v[218:221], v0, s[8:9] offset:16
	ds_read_b128 v[96:99], v228 offset:24960
	ds_read_b128 v[80:83], v228 offset:25920
	ds_read_b128 v[88:91], v228 offset:30720
	ds_read_b128 v[64:67], v228 offset:31680
	ds_read_b128 v[4:7], v228 offset:3840
	ds_read_b128 v[20:23], v228 offset:4800
	ds_read_b128 v[68:71], v228 offset:9600
	ds_read_b128 v[36:39], v228 offset:10560
	ds_read_b128 v[60:63], v228 offset:15360
	ds_read_b128 v[32:35], v228 offset:16320
	ds_read_b128 v[52:55], v228 offset:21120
	ds_read_b128 v[28:31], v228 offset:22080
	ds_read_b128 v[48:51], v228 offset:26880
	ds_read_b128 v[24:27], v228 offset:27840
	global_load_dwordx4 v[124:127], v0, s[8:9] offset:48
	global_load_dwordx4 v[128:131], v0, s[8:9] offset:64
	v_lshl_add_u32 v1, v188, 4, 0
	ds_read_b128 v[12:15], v8
	v_accvgpr_write_b32 a3, v8
	ds_read_b128 v[8:11], v1
	v_accvgpr_write_b32 a1, v1
	v_mul_lo_u16_sdwa v1, v224, s4 dst_sel:DWORD dst_unused:UNUSED_PAD src0_sel:BYTE_0 src1_sel:DWORD
	v_lshrrev_b16_e32 v227, 11, v1
	v_mul_lo_u16_e32 v1, 10, v227
	v_sub_u16_e32 v212, v224, v1
	v_mul_u32_u24_sdwa v0, v212, v122 dst_sel:DWORD dst_unused:UNUSED_PAD src0_sel:BYTE_0 src1_sel:DWORD
	v_accvgpr_write_b32 a0, v2
	v_accvgpr_read_b32 v3, a12              ;  Reload Reuse
	v_lshlrev_b32_e32 v123, 4, v0
	v_mul_lo_u16_sdwa v0, v188, s4 dst_sel:DWORD dst_unused:UNUSED_PAD src0_sel:BYTE_0 src1_sel:DWORD
	v_accvgpr_read_b32 v2, a13              ;  Reload Reuse
	v_lshrrev_b16_e32 v232, 11, v0
	v_add_u32_e32 v197, 0xf0, v2
	v_accvgpr_read_b32 v3, a12              ;  Reload Reuse
	v_mul_lo_u16_e32 v196, 10, v232
	v_mov_b32_e32 v226, v188
	v_accvgpr_read_b32 v2, a13              ;  Reload Reuse
	global_load_dwordx4 v[132:135], v123, s[8:9] offset:16
	global_load_dwordx4 v[136:139], v123, s[8:9]
	v_sub_u16_e32 v233, v226, v196
	v_add_u32_e32 v255, 0x12c, v2
	ds_read_b128 v[16:19], v108
	v_accvgpr_write_b32 a2, v108
	ds_read_b128 v[108:111], v228 offset:32640
	global_load_dwordx4 v[160:163], v123, s[8:9] offset:48
	global_load_dwordx4 v[168:171], v123, s[8:9] offset:32
	s_mov_b32 s4, 0xcccd
	v_accvgpr_write_b32 a4, v197
	s_mov_b32 s10, 0xe8584caa
	s_mov_b32 s11, 0x3febb67a
	;; [unrolled: 1-line block ×3, first 2 shown]
	s_movk_i32 s12, 0x89
	v_accvgpr_mov_b32 a5, a4
	v_accvgpr_write_b32 a8, v224
	v_accvgpr_write_b32 a6, v226
	s_movk_i32 s14, 0x1000
	s_waitcnt vmcnt(13) lgkmcnt(14)
	v_mul_f64 v[0:1], v[182:183], v[178:179]
	v_mul_f64 v[200:201], v[180:181], v[178:179]
	s_waitcnt vmcnt(12)
	v_mul_f64 v[2:3], v[186:187], v[174:175]
	v_fma_f64 v[180:181], v[180:181], v[176:177], -v[0:1]
	v_mul_u32_u24_sdwa v0, v233, v122 dst_sel:DWORD dst_unused:UNUSED_PAD src0_sel:BYTE_0 src1_sel:DWORD
	v_mul_f64 v[202:203], v[184:185], v[174:175]
	v_fma_f64 v[184:185], v[184:185], v[172:173], -v[2:3]
	v_lshlrev_b32_e32 v2, 4, v0
	s_waitcnt vmcnt(10)
	v_mul_f64 v[0:1], v[208:209], v[150:151]
	v_mul_f64 v[120:121], v[166:167], v[158:159]
	v_fmac_f64_e32 v[202:203], v[186:187], v[172:173]
	v_mul_f64 v[186:187], v[164:165], v[158:159]
	v_fma_f64 v[204:205], v[206:207], v[148:149], -v[0:1]
	v_mul_f64 v[206:207], v[206:207], v[150:151]
	v_mov_b32_e32 v3, v197
	v_fmac_f64_e32 v[200:201], v[182:183], v[176:177]
	v_fma_f64 v[188:189], v[164:165], v[156:157], -v[120:121]
	global_load_dwordx4 v[172:175], v123, s[8:9] offset:64
	global_load_dwordx4 v[176:179], v2, s[8:9]
	v_fmac_f64_e32 v[186:187], v[166:167], v[156:157]
	global_load_dwordx4 v[156:159], v2, s[8:9] offset:32
	global_load_dwordx4 v[164:167], v2, s[8:9] offset:16
	v_fmac_f64_e32 v[206:207], v[208:209], v[148:149]
	global_load_dwordx4 v[148:151], v2, s[8:9] offset:48
	global_load_dwordx4 v[238:241], v2, s[8:9] offset:64
	v_mul_u32_u24_sdwa v2, v3, s4 dst_sel:DWORD dst_unused:UNUSED_PAD src0_sel:WORD_0 src1_sel:DWORD
	v_lshrrev_b32_e32 v234, 19, v2
	s_waitcnt vmcnt(15)
	v_mul_f64 v[0:1], v[146:147], v[142:143]
	v_mul_lo_u16_e32 v2, 10, v234
	v_sub_u16_e32 v235, v3, v2
	v_fma_f64 v[182:183], v[144:145], v[140:141], -v[0:1]
	v_mul_f64 v[216:217], v[144:145], v[142:143]
	s_waitcnt vmcnt(14)
	v_mul_f64 v[0:1], v[114:115], v[154:155]
	v_mul_u32_u24_e32 v2, 5, v235
	v_fmac_f64_e32 v[216:217], v[146:147], v[140:141]
	v_fma_f64 v[146:147], v[112:113], v[152:153], -v[0:1]
	v_mul_f64 v[154:155], v[112:113], v[154:155]
	s_waitcnt vmcnt(12)
	v_mul_f64 v[0:1], v[74:75], v[220:221]
	v_lshlrev_b32_e32 v2, 4, v2
	v_fmac_f64_e32 v[154:155], v[114:115], v[152:153]
	v_fma_f64 v[152:153], v[72:73], v[218:219], -v[0:1]
	v_mul_u32_u24_sdwa v0, v255, s4 dst_sel:DWORD dst_unused:UNUSED_PAD src0_sel:WORD_0 src1_sel:DWORD
	global_load_dwordx4 v[242:245], v2, s[8:9] offset:16
	global_load_dwordx4 v[246:249], v2, s[8:9]
	v_lshrrev_b32_e32 v236, 19, v0
	v_mul_lo_u16_e32 v0, 10, v236
	global_load_dwordx4 v[140:143], v2, s[8:9] offset:48
	global_load_dwordx4 v[250:253], v2, s[8:9] offset:32
	v_sub_u16_e32 v237, v255, v0
	v_mul_u32_u24_e32 v0, 5, v237
	v_mul_f64 v[72:73], v[72:73], v[220:221]
	global_load_dwordx4 v[196:199], v2, s[8:9] offset:64
	v_lshlrev_b32_e32 v144, 4, v0
	global_load_dwordx4 v[120:123], v144, s[8:9]
	v_fmac_f64_e32 v[72:73], v[74:75], v[218:219]
	v_mul_f64 v[74:75], v[58:59], v[118:119]
	global_load_dwordx4 v[0:3], v144, s[8:9] offset:32
	global_load_dwordx4 v[112:115], v144, s[8:9] offset:16
	v_fma_f64 v[220:221], v[56:57], v[116:117], -v[74:75]
	v_mul_f64 v[56:57], v[56:57], v[118:119]
	v_fmac_f64_e32 v[56:57], v[58:59], v[116:117]
	s_waitcnt vmcnt(19)
	v_mul_f64 v[58:59], v[106:107], v[126:127]
	v_mul_f64 v[118:119], v[104:105], v[126:127]
	v_fma_f64 v[230:231], v[104:105], v[124:125], -v[58:59]
	v_fmac_f64_e32 v[118:119], v[106:107], v[124:125]
	global_load_dwordx4 v[104:107], v144, s[8:9] offset:48
	global_load_dwordx4 v[124:127], v144, s[8:9] offset:64
	s_waitcnt vmcnt(20)
	v_mul_f64 v[58:59], v[46:47], v[130:131]
	v_fma_f64 v[58:59], v[44:45], v[128:129], -v[58:59]
	v_mul_f64 v[130:131], v[44:45], v[130:131]
	s_waitcnt vmcnt(18)
	v_mul_f64 v[44:45], v[42:43], v[138:139]
	v_fma_f64 v[74:75], v[40:41], v[136:137], -v[44:45]
	v_mul_f64 v[208:209], v[40:41], v[138:139]
	v_mul_f64 v[40:41], v[102:103], v[134:135]
	v_fma_f64 v[214:215], v[100:101], v[132:133], -v[40:41]
	s_waitcnt vmcnt(16)
	v_mul_f64 v[40:41], v[94:95], v[170:171]
	v_fmac_f64_e32 v[130:131], v[46:47], v[128:129]
	v_fma_f64 v[128:129], v[92:93], v[168:169], -v[40:41]
	v_mul_f64 v[170:171], v[92:93], v[170:171]
	v_mul_f64 v[40:41], v[98:99], v[162:163]
	v_fmac_f64_e32 v[170:171], v[94:95], v[168:169]
	v_fma_f64 v[168:169], v[96:97], v[160:161], -v[40:41]
	v_mul_f64 v[222:223], v[96:97], v[162:163]
	v_fmac_f64_e32 v[222:223], v[98:99], v[160:161]
	v_mul_f64 v[218:219], v[100:101], v[134:135]
	v_fmac_f64_e32 v[208:209], v[42:43], v[136:137]
	ds_read_b128 v[42:45], v228
	ds_read_b128 v[136:139], v228 offset:33600
	v_fmac_f64_e32 v[218:219], v[102:103], v[132:133]
	s_mov_b32 s4, s10
	s_waitcnt lgkmcnt(0)
	; wave barrier
	s_waitcnt vmcnt(15) lgkmcnt(0)
	v_mul_f64 v[40:41], v[90:91], v[174:175]
	v_fma_f64 v[160:161], v[88:89], v[172:173], -v[40:41]
	s_waitcnt vmcnt(14)
	v_mul_f64 v[40:41], v[194:195], v[178:179]
	v_fma_f64 v[94:95], v[192:193], v[176:177], -v[40:41]
	s_waitcnt vmcnt(12)
	v_mul_f64 v[40:41], v[86:87], v[166:167]
	v_fma_f64 v[92:93], v[84:85], v[164:165], -v[40:41]
	v_mul_f64 v[40:41], v[78:79], v[158:159]
	v_mul_f64 v[98:99], v[84:85], v[166:167]
	v_fma_f64 v[84:85], v[76:77], v[156:157], -v[40:41]
	s_waitcnt vmcnt(11)
	v_mul_f64 v[40:41], v[82:83], v[150:151]
	v_fma_f64 v[100:101], v[80:81], v[148:149], -v[40:41]
	s_waitcnt vmcnt(10)
	v_mul_f64 v[40:41], v[66:67], v[240:241]
	v_mul_f64 v[162:163], v[88:89], v[174:175]
	v_fma_f64 v[88:89], v[64:65], v[238:239], -v[40:41]
	v_fmac_f64_e32 v[98:99], v[86:87], v[164:165]
	v_mul_f64 v[86:87], v[76:77], v[158:159]
	v_mul_f64 v[96:97], v[192:193], v[178:179]
	;; [unrolled: 1-line block ×3, first 2 shown]
	v_fmac_f64_e32 v[96:97], v[194:195], v[176:177]
	v_fmac_f64_e32 v[86:87], v[78:79], v[156:157]
	;; [unrolled: 1-line block ×4, first 2 shown]
	s_waitcnt vmcnt(9)
	v_mul_f64 v[148:149], v[60:61], v[244:245]
	s_waitcnt vmcnt(8)
	v_mul_f64 v[40:41], v[70:71], v[248:249]
	v_fma_f64 v[158:159], v[68:69], v[246:247], -v[40:41]
	v_mul_f64 v[40:41], v[62:63], v[244:245]
	v_fma_f64 v[192:193], v[60:61], v[242:243], -v[40:41]
	s_waitcnt vmcnt(6)
	v_mul_f64 v[40:41], v[54:55], v[252:253]
	v_fma_f64 v[166:167], v[52:53], v[250:251], -v[40:41]
	v_mul_f64 v[40:41], v[50:51], v[142:143]
	v_fma_f64 v[150:151], v[48:49], v[140:141], -v[40:41]
	s_waitcnt vmcnt(5)
	v_mul_f64 v[40:41], v[110:111], v[198:199]
	v_fma_f64 v[164:165], v[108:109], v[196:197], -v[40:41]
	s_waitcnt vmcnt(4)
	v_mul_f64 v[40:41], v[38:39], v[122:123]
	v_mul_f64 v[108:109], v[108:109], v[198:199]
	v_fma_f64 v[174:175], v[36:37], v[120:121], -v[40:41]
	v_mul_f64 v[176:177], v[36:37], v[122:123]
	s_waitcnt vmcnt(2)
	v_mul_f64 v[36:37], v[34:35], v[114:115]
	v_fmac_f64_e32 v[108:109], v[110:111], v[196:197]
	v_fma_f64 v[132:133], v[32:33], v[112:113], -v[36:37]
	v_mul_f64 v[178:179], v[32:33], v[114:115]
	v_mul_f64 v[32:33], v[30:31], v[2:3]
	;; [unrolled: 1-line block ×4, first 2 shown]
	v_fma_f64 v[156:157], v[28:29], v[0:1], -v[32:33]
	v_fmac_f64_e32 v[196:197], v[30:31], v[0:1]
	s_waitcnt vmcnt(1)
	v_mul_f64 v[0:1], v[26:27], v[106:107]
	v_fmac_f64_e32 v[144:145], v[50:51], v[140:141]
	v_fma_f64 v[140:141], v[24:25], v[104:105], -v[0:1]
	s_waitcnt vmcnt(0)
	v_mul_f64 v[0:1], v[138:139], v[126:127]
	v_fma_f64 v[134:135], v[136:137], v[124:125], -v[0:1]
	v_add_f64 v[0:1], v[42:43], v[184:185]
	v_add_f64 v[32:33], v[0:1], v[204:205]
	;; [unrolled: 1-line block ×3, first 2 shown]
	v_fmac_f64_e32 v[42:43], -0.5, v[0:1]
	v_add_f64 v[0:1], v[202:203], -v[206:207]
	v_fmac_f64_e32 v[178:179], v[34:35], v[112:113]
	v_fma_f64 v[34:35], s[10:11], v[0:1], v[42:43]
	v_fmac_f64_e32 v[42:43], s[4:5], v[0:1]
	v_add_f64 v[0:1], v[44:45], v[202:203]
	v_fmac_f64_e32 v[176:177], v[38:39], v[120:121]
	v_add_f64 v[38:39], v[0:1], v[206:207]
	v_add_f64 v[0:1], v[202:203], v[206:207]
	v_fmac_f64_e32 v[44:45], -0.5, v[0:1]
	v_add_f64 v[0:1], v[184:185], -v[204:205]
	v_fma_f64 v[46:47], s[4:5], v[0:1], v[44:45]
	v_fmac_f64_e32 v[44:45], s[10:11], v[0:1]
	v_add_f64 v[0:1], v[180:181], v[188:189]
	v_add_f64 v[36:37], v[0:1], v[182:183]
	v_add_f64 v[0:1], v[188:189], v[182:183]
	v_mul_f64 v[142:143], v[24:25], v[106:107]
	v_fmac_f64_e32 v[180:181], -0.5, v[0:1]
	v_add_f64 v[0:1], v[186:187], -v[216:217]
	v_fmac_f64_e32 v[142:143], v[26:27], v[104:105]
	v_fma_f64 v[26:27], s[10:11], v[0:1], v[180:181]
	v_fmac_f64_e32 v[180:181], s[4:5], v[0:1]
	v_add_f64 v[0:1], v[200:201], v[186:187]
	v_add_f64 v[48:49], v[0:1], v[216:217]
	;; [unrolled: 1-line block ×3, first 2 shown]
	v_fmac_f64_e32 v[200:201], -0.5, v[0:1]
	v_add_f64 v[0:1], v[188:189], -v[182:183]
	v_fma_f64 v[30:31], s[4:5], v[0:1], v[200:201]
	v_fmac_f64_e32 v[200:201], s[10:11], v[0:1]
	v_mul_f64 v[172:173], v[52:53], v[252:253]
	v_mul_f64 v[50:51], v[30:31], s[10:11]
	v_mul_f64 v[60:61], v[200:201], -0.5
	v_fmac_f64_e32 v[172:173], v[54:55], v[250:251]
	v_fmac_f64_e32 v[50:51], 0.5, v[26:27]
	v_mul_f64 v[54:55], v[26:27], s[4:5]
	v_fmac_f64_e32 v[60:61], s[4:5], v[180:181]
	v_add_f64 v[0:1], v[32:33], v[36:37]
	v_add_f64 v[24:25], v[34:35], v[50:51]
	v_fmac_f64_e32 v[54:55], 0.5, v[30:31]
	v_add_f64 v[30:31], v[44:45], v[60:61]
	v_add_f64 v[40:41], v[32:33], -v[36:37]
	v_add_f64 v[36:37], v[34:35], -v[50:51]
	;; [unrolled: 1-line block ×3, first 2 shown]
	v_add_f64 v[44:45], v[16:17], v[152:153]
	v_add_f64 v[60:61], v[44:45], v[230:231]
	v_add_f64 v[44:45], v[152:153], v[230:231]
	v_fmac_f64_e32 v[16:17], -0.5, v[44:45]
	v_add_f64 v[44:45], v[72:73], -v[118:119]
	v_fmac_f64_e32 v[148:149], v[62:63], v[242:243]
	v_fma_f64 v[62:63], s[10:11], v[44:45], v[16:17]
	v_fmac_f64_e32 v[16:17], s[4:5], v[44:45]
	v_add_f64 v[44:45], v[18:19], v[72:73]
	v_mul_f64 v[90:91], v[64:65], v[240:241]
	v_add_f64 v[64:65], v[44:45], v[118:119]
	v_add_f64 v[44:45], v[72:73], v[118:119]
	v_fmac_f64_e32 v[18:19], -0.5, v[44:45]
	v_add_f64 v[44:45], v[152:153], -v[230:231]
	v_fmac_f64_e32 v[90:91], v[66:67], v[238:239]
	v_fma_f64 v[66:67], s[4:5], v[44:45], v[18:19]
	v_fmac_f64_e32 v[18:19], s[10:11], v[44:45]
	v_add_f64 v[44:45], v[146:147], v[220:221]
	v_mul_f64 v[116:117], v[68:69], v[248:249]
	v_add_f64 v[68:69], v[44:45], v[58:59]
	v_add_f64 v[44:45], v[220:221], v[58:59]
	v_fmac_f64_e32 v[146:147], -0.5, v[44:45]
	v_add_f64 v[44:45], v[56:57], -v[130:131]
	v_fma_f64 v[50:51], s[10:11], v[44:45], v[146:147]
	v_fmac_f64_e32 v[146:147], s[4:5], v[44:45]
	v_add_f64 v[44:45], v[154:155], v[56:57]
	v_fmac_f64_e32 v[116:117], v[70:71], v[246:247]
	v_mul_f64 v[52:53], v[180:181], -0.5
	v_add_f64 v[70:71], v[44:45], v[130:131]
	v_add_f64 v[44:45], v[56:57], v[130:131]
	v_fmac_f64_e32 v[52:53], s[10:11], v[200:201]
	v_fmac_f64_e32 v[154:155], -0.5, v[44:45]
	v_add_f64 v[44:45], v[220:221], -v[58:59]
	v_add_f64 v[28:29], v[42:43], v[52:53]
	v_add_f64 v[2:3], v[38:39], v[48:49]
	;; [unrolled: 1-line block ×3, first 2 shown]
	v_add_f64 v[32:33], v[42:43], -v[52:53]
	v_add_f64 v[42:43], v[38:39], -v[48:49]
	;; [unrolled: 1-line block ×3, first 2 shown]
	v_fma_f64 v[54:55], s[4:5], v[44:45], v[154:155]
	v_fmac_f64_e32 v[154:155], s[10:11], v[44:45]
	v_mul_f64 v[56:57], v[54:55], s[10:11]
	v_fmac_f64_e32 v[56:57], 0.5, v[50:51]
	v_mul_f64 v[76:77], v[154:155], -0.5
	v_add_f64 v[48:49], v[62:63], v[56:57]
	v_add_f64 v[46:47], v[64:65], v[70:71]
	v_mul_f64 v[72:73], v[50:51], s[4:5]
	v_fmac_f64_e32 v[76:77], s[4:5], v[146:147]
	v_add_f64 v[56:57], v[62:63], -v[56:57]
	v_add_f64 v[62:63], v[64:65], -v[70:71]
	v_add_f64 v[64:65], v[12:13], v[214:215]
	v_fmac_f64_e32 v[72:73], 0.5, v[54:55]
	v_add_f64 v[54:55], v[18:19], v[76:77]
	v_add_f64 v[18:19], v[18:19], -v[76:77]
	v_add_f64 v[76:77], v[64:65], v[168:169]
	v_add_f64 v[64:65], v[214:215], v[168:169]
	v_fmac_f64_e32 v[12:13], -0.5, v[64:65]
	v_add_f64 v[64:65], v[218:219], -v[222:223]
	v_fma_f64 v[78:79], s[10:11], v[64:65], v[12:13]
	v_fmac_f64_e32 v[12:13], s[4:5], v[64:65]
	v_add_f64 v[64:65], v[14:15], v[218:219]
	v_add_f64 v[82:83], v[64:65], v[222:223]
	v_add_f64 v[64:65], v[218:219], v[222:223]
	v_fmac_f64_e32 v[14:15], -0.5, v[64:65]
	v_add_f64 v[64:65], v[214:215], -v[168:169]
	v_fma_f64 v[104:105], s[4:5], v[64:65], v[14:15]
	v_fmac_f64_e32 v[14:15], s[10:11], v[64:65]
	v_add_f64 v[64:65], v[74:75], v[128:129]
	;; [unrolled: 7-line block ×3, first 2 shown]
	v_add_f64 v[106:107], v[64:65], v[162:163]
	v_add_f64 v[64:65], v[170:171], v[162:163]
	v_fmac_f64_e32 v[208:209], -0.5, v[64:65]
	v_add_f64 v[64:65], v[128:129], -v[160:161]
	v_mul_f64 v[58:59], v[146:147], -0.5
	v_fma_f64 v[110:111], s[4:5], v[64:65], v[208:209]
	v_fmac_f64_e32 v[58:59], s[10:11], v[154:155]
	v_fmac_f64_e32 v[208:209], s[10:11], v[64:65]
	v_mul_f64 v[112:113], v[110:111], s[10:11]
	v_mul_f64 v[118:119], v[70:71], s[4:5]
	v_add_f64 v[52:53], v[16:17], v[58:59]
	v_add_f64 v[50:51], v[66:67], v[72:73]
	v_add_f64 v[16:17], v[16:17], -v[58:59]
	v_add_f64 v[58:59], v[66:67], -v[72:73]
	v_fmac_f64_e32 v[112:113], 0.5, v[70:71]
	v_add_f64 v[66:67], v[82:83], v[106:107]
	v_fmac_f64_e32 v[118:119], 0.5, v[110:111]
	v_mul_f64 v[110:111], v[208:209], -0.5
	v_add_f64 v[82:83], v[82:83], -v[106:107]
	v_add_f64 v[106:107], v[92:93], v[100:101]
	v_add_f64 v[44:45], v[60:61], v[68:69]
	v_add_f64 v[60:61], v[60:61], -v[68:69]
	v_add_f64 v[64:65], v[76:77], v[80:81]
	v_add_f64 v[68:69], v[78:79], v[112:113]
	;; [unrolled: 1-line block ×3, first 2 shown]
	v_fmac_f64_e32 v[110:111], s[4:5], v[74:75]
	v_add_f64 v[80:81], v[76:77], -v[80:81]
	v_add_f64 v[76:77], v[78:79], -v[112:113]
	;; [unrolled: 1-line block ×3, first 2 shown]
	v_add_f64 v[104:105], v[8:9], v[92:93]
	v_fmac_f64_e32 v[8:9], -0.5, v[106:107]
	v_add_f64 v[106:107], v[98:99], -v[102:103]
	v_mul_f64 v[114:115], v[74:75], -0.5
	v_add_f64 v[74:75], v[14:15], v[110:111]
	v_add_f64 v[14:15], v[14:15], -v[110:111]
	v_fma_f64 v[110:111], s[10:11], v[106:107], v[8:9]
	v_fmac_f64_e32 v[8:9], s[4:5], v[106:107]
	v_add_f64 v[106:107], v[10:11], v[98:99]
	v_add_f64 v[98:99], v[98:99], v[102:103]
	v_fmac_f64_e32 v[10:11], -0.5, v[98:99]
	v_add_f64 v[92:93], v[92:93], -v[100:101]
	v_fma_f64 v[98:99], s[4:5], v[92:93], v[10:11]
	v_fmac_f64_e32 v[10:11], s[10:11], v[92:93]
	v_add_f64 v[92:93], v[94:95], v[84:85]
	v_add_f64 v[104:105], v[104:105], v[100:101]
	;; [unrolled: 1-line block ×4, first 2 shown]
	v_fmac_f64_e32 v[94:95], -0.5, v[92:93]
	v_add_f64 v[92:93], v[86:87], -v[90:91]
	v_add_f64 v[106:107], v[106:107], v[102:103]
	v_fma_f64 v[102:103], s[10:11], v[92:93], v[94:95]
	v_fmac_f64_e32 v[94:95], s[4:5], v[92:93]
	v_add_f64 v[92:93], v[96:97], v[86:87]
	v_add_f64 v[86:87], v[86:87], v[90:91]
	v_fmac_f64_e32 v[96:97], -0.5, v[86:87]
	v_add_f64 v[84:85], v[84:85], -v[88:89]
	v_add_f64 v[112:113], v[92:93], v[90:91]
	v_fma_f64 v[90:91], s[4:5], v[84:85], v[96:97]
	v_fmac_f64_e32 v[96:97], s[10:11], v[84:85]
	v_mul_f64 v[118:119], v[94:95], -0.5
	v_add_f64 v[84:85], v[104:105], v[100:101]
	v_fmac_f64_e32 v[118:119], s[10:11], v[96:97]
	v_add_f64 v[100:101], v[104:105], -v[100:101]
	v_add_f64 v[104:105], v[4:5], v[192:193]
	v_add_f64 v[92:93], v[8:9], v[118:119]
	v_mul_f64 v[122:123], v[96:97], -0.5
	v_add_f64 v[8:9], v[8:9], -v[118:119]
	v_add_f64 v[118:119], v[104:105], v[150:151]
	v_add_f64 v[104:105], v[192:193], v[150:151]
	v_fmac_f64_e32 v[122:123], s[4:5], v[94:95]
	v_fmac_f64_e32 v[4:5], -0.5, v[104:105]
	v_add_f64 v[104:105], v[148:149], -v[144:145]
	v_mul_f64 v[126:127], v[136:137], v[126:127]
	v_add_f64 v[94:95], v[10:11], v[122:123]
	v_add_f64 v[10:11], v[10:11], -v[122:123]
	v_fma_f64 v[122:123], s[10:11], v[104:105], v[4:5]
	v_fmac_f64_e32 v[4:5], s[4:5], v[104:105]
	v_add_f64 v[104:105], v[6:7], v[148:149]
	v_fmac_f64_e32 v[126:127], v[138:139], v[124:125]
	v_add_f64 v[124:125], v[104:105], v[144:145]
	v_add_f64 v[104:105], v[148:149], v[144:145]
	v_mul_f64 v[120:121], v[102:103], s[4:5]
	v_fmac_f64_e32 v[6:7], -0.5, v[104:105]
	v_add_f64 v[104:105], v[192:193], -v[150:151]
	v_fmac_f64_e32 v[114:115], s[10:11], v[208:209]
	v_fmac_f64_e32 v[120:121], 0.5, v[90:91]
	v_fma_f64 v[128:129], s[4:5], v[104:105], v[6:7]
	v_fmac_f64_e32 v[6:7], s[10:11], v[104:105]
	v_add_f64 v[104:105], v[158:159], v[166:167]
	v_add_f64 v[72:73], v[12:13], v[114:115]
	v_add_f64 v[12:13], v[12:13], -v[114:115]
	v_mul_f64 v[114:115], v[90:91], s[10:11]
	v_add_f64 v[90:91], v[98:99], v[120:121]
	v_add_f64 v[98:99], v[98:99], -v[120:121]
	v_add_f64 v[120:121], v[104:105], v[164:165]
	v_add_f64 v[104:105], v[166:167], v[164:165]
	v_fmac_f64_e32 v[114:115], 0.5, v[102:103]
	v_fmac_f64_e32 v[158:159], -0.5, v[104:105]
	v_add_f64 v[104:105], v[172:173], -v[108:109]
	v_add_f64 v[88:89], v[110:111], v[114:115]
	v_add_f64 v[96:97], v[110:111], -v[114:115]
	v_fma_f64 v[110:111], s[10:11], v[104:105], v[158:159]
	v_fmac_f64_e32 v[158:159], s[4:5], v[104:105]
	v_add_f64 v[104:105], v[116:117], v[172:173]
	v_add_f64 v[130:131], v[104:105], v[108:109]
	;; [unrolled: 1-line block ×3, first 2 shown]
	v_fmac_f64_e32 v[116:117], -0.5, v[104:105]
	v_add_f64 v[104:105], v[166:167], -v[164:165]
	v_fma_f64 v[114:115], s[4:5], v[104:105], v[116:117]
	v_mul_f64 v[136:137], v[114:115], s[10:11]
	v_fmac_f64_e32 v[116:117], s[10:11], v[104:105]
	v_fmac_f64_e32 v[136:137], 0.5, v[110:111]
	v_mul_f64 v[138:139], v[158:159], -0.5
	v_add_f64 v[86:87], v[106:107], v[112:113]
	v_add_f64 v[102:103], v[106:107], -v[112:113]
	v_add_f64 v[108:109], v[122:123], v[136:137]
	v_fmac_f64_e32 v[138:139], s[10:11], v[116:117]
	v_add_f64 v[106:107], v[124:125], v[130:131]
	v_mul_f64 v[146:147], v[116:117], -0.5
	v_add_f64 v[116:117], v[122:123], -v[136:137]
	v_add_f64 v[122:123], v[124:125], -v[130:131]
	v_add_f64 v[124:125], v[20:21], v[132:133]
	v_add_f64 v[136:137], v[124:125], v[140:141]
	;; [unrolled: 1-line block ×3, first 2 shown]
	v_mul_f64 v[144:145], v[110:111], s[4:5]
	v_fmac_f64_e32 v[20:21], -0.5, v[124:125]
	v_add_f64 v[124:125], v[178:179], -v[142:143]
	v_add_f64 v[112:113], v[4:5], v[138:139]
	v_fmac_f64_e32 v[144:145], 0.5, v[114:115]
	v_add_f64 v[4:5], v[4:5], -v[138:139]
	v_fma_f64 v[138:139], s[10:11], v[124:125], v[20:21]
	v_fmac_f64_e32 v[20:21], s[4:5], v[124:125]
	v_add_f64 v[124:125], v[22:23], v[178:179]
	v_add_f64 v[104:105], v[118:119], v[120:121]
	v_add_f64 v[110:111], v[128:129], v[144:145]
	v_add_f64 v[120:121], v[118:119], -v[120:121]
	v_add_f64 v[118:119], v[128:129], -v[144:145]
	v_add_f64 v[144:145], v[124:125], v[142:143]
	v_add_f64 v[124:125], v[178:179], v[142:143]
	v_fmac_f64_e32 v[22:23], -0.5, v[124:125]
	v_add_f64 v[124:125], v[132:133], -v[140:141]
	v_fma_f64 v[142:143], s[4:5], v[124:125], v[22:23]
	v_fmac_f64_e32 v[22:23], s[10:11], v[124:125]
	v_add_f64 v[124:125], v[174:175], v[156:157]
	v_add_f64 v[140:141], v[124:125], v[134:135]
	;; [unrolled: 1-line block ×3, first 2 shown]
	v_fmac_f64_e32 v[174:175], -0.5, v[124:125]
	v_add_f64 v[124:125], v[196:197], -v[126:127]
	v_fmac_f64_e32 v[146:147], s[4:5], v[158:159]
	v_fma_f64 v[130:131], s[10:11], v[124:125], v[174:175]
	v_fmac_f64_e32 v[174:175], s[4:5], v[124:125]
	v_add_f64 v[124:125], v[176:177], v[196:197]
	v_add_f64 v[114:115], v[6:7], v[146:147]
	v_add_f64 v[6:7], v[6:7], -v[146:147]
	v_add_f64 v[146:147], v[124:125], v[126:127]
	v_add_f64 v[124:125], v[196:197], v[126:127]
	v_fmac_f64_e32 v[176:177], -0.5, v[124:125]
	v_add_f64 v[124:125], v[156:157], -v[134:135]
	v_fma_f64 v[134:135], s[4:5], v[124:125], v[176:177]
	v_mul_f64 v[148:149], v[134:135], s[10:11]
	v_fmac_f64_e32 v[148:149], 0.5, v[130:131]
	v_fmac_f64_e32 v[176:177], s[10:11], v[124:125]
	v_add_f64 v[124:125], v[136:137], v[140:141]
	v_add_f64 v[128:129], v[138:139], v[148:149]
	;; [unrolled: 1-line block ×3, first 2 shown]
	v_add_f64 v[136:137], v[136:137], -v[140:141]
	v_add_f64 v[140:141], v[138:139], -v[148:149]
	;; [unrolled: 1-line block ×3, first 2 shown]
	v_mov_b32_e32 v145, 4
	v_mul_u32_u24_e32 v144, 0x3c0, v254
	v_lshlrev_b32_sdwa v146, v145, v229 dst_sel:DWORD dst_unused:UNUSED_PAD src0_sel:DWORD src1_sel:BYTE_0
	v_add3_u32 v144, 0, v144, v146
	ds_write_b128 v144, v[0:3]
	ds_write_b128 v144, v[24:27] offset:160
	ds_write_b128 v144, v[28:31] offset:320
	ds_write_b128 v144, v[40:43] offset:480
	ds_write_b128 v144, v[36:39] offset:640
	ds_write_b128 v144, v[32:35] offset:800
	v_mul_u32_u24_e32 v0, 0x3c0, v213
	v_lshlrev_b32_sdwa v1, v145, v225 dst_sel:DWORD dst_unused:UNUSED_PAD src0_sel:DWORD src1_sel:BYTE_0
	v_add3_u32 v0, 0, v0, v1
	ds_write_b128 v0, v[44:47]
	ds_write_b128 v0, v[48:51] offset:160
	ds_write_b128 v0, v[52:55] offset:320
	ds_write_b128 v0, v[60:63] offset:480
	ds_write_b128 v0, v[56:59] offset:640
	ds_write_b128 v0, v[16:19] offset:800
	v_mul_u32_u24_e32 v0, 0x3c0, v227
	v_lshlrev_b32_sdwa v1, v145, v212 dst_sel:DWORD dst_unused:UNUSED_PAD src0_sel:DWORD src1_sel:BYTE_0
	v_add3_u32 v0, 0, v0, v1
	ds_write_b128 v0, v[64:67]
	ds_write_b128 v0, v[68:71] offset:160
	ds_write_b128 v0, v[72:75] offset:320
	ds_write_b128 v0, v[80:83] offset:480
	ds_write_b128 v0, v[76:79] offset:640
	ds_write_b128 v0, v[12:15] offset:800
	v_mul_u32_u24_e32 v0, 0x3c0, v232
	v_lshlrev_b32_sdwa v1, v145, v233 dst_sel:DWORD dst_unused:UNUSED_PAD src0_sel:DWORD src1_sel:BYTE_0
	v_add3_u32 v0, 0, v0, v1
	ds_write_b128 v0, v[84:87]
	ds_write_b128 v0, v[88:91] offset:160
	ds_write_b128 v0, v[92:95] offset:320
	ds_write_b128 v0, v[100:103] offset:480
	ds_write_b128 v0, v[96:99] offset:640
	ds_write_b128 v0, v[8:11] offset:800
	v_mul_u32_u24_e32 v0, 0x3c0, v234
	v_lshlrev_b32_e32 v1, 4, v235
	v_add3_u32 v0, 0, v0, v1
	v_mul_f64 v[150:151], v[174:175], -0.5
	v_mul_f64 v[152:153], v[130:131], s[4:5]
	v_mul_f64 v[154:155], v[176:177], -0.5
	ds_write_b128 v0, v[104:107]
	ds_write_b128 v0, v[108:111] offset:160
	ds_write_b128 v0, v[112:115] offset:320
	;; [unrolled: 1-line block ×5, first 2 shown]
	v_mul_u32_u24_e32 v0, 0x3c0, v236
	v_lshlrev_b32_e32 v1, 4, v237
	v_fmac_f64_e32 v[150:151], s[10:11], v[176:177]
	v_fmac_f64_e32 v[152:153], 0.5, v[134:135]
	v_fmac_f64_e32 v[154:155], s[4:5], v[174:175]
	v_add3_u32 v0, 0, v0, v1
	v_add_f64 v[132:133], v[20:21], v[150:151]
	v_add_f64 v[130:131], v[142:143], v[152:153]
	;; [unrolled: 1-line block ×3, first 2 shown]
	v_add_f64 v[20:21], v[20:21], -v[150:151]
	v_add_f64 v[142:143], v[142:143], -v[152:153]
	;; [unrolled: 1-line block ×3, first 2 shown]
	ds_write_b128 v0, v[124:127]
	ds_write_b128 v0, v[128:131] offset:160
	ds_write_b128 v0, v[132:135] offset:320
	;; [unrolled: 1-line block ×5, first 2 shown]
	v_accvgpr_read_b32 v1, a12              ;  Reload Reuse
	v_accvgpr_read_b32 v0, a13              ;  Reload Reuse
	v_mul_u32_u24_e32 v0, 5, v0
	v_lshlrev_b32_e32 v230, 4, v0
	s_waitcnt lgkmcnt(0)
	; wave barrier
	s_waitcnt lgkmcnt(0)
	global_load_dwordx4 v[144:147], v230, s[8:9] offset:800
	global_load_dwordx4 v[124:127], v230, s[8:9] offset:816
	;; [unrolled: 1-line block ×4, first 2 shown]
	ds_read_b128 v[140:143], v228 offset:5760
	ds_read_b128 v[156:159], v228 offset:6720
	;; [unrolled: 1-line block ×8, first 2 shown]
	global_load_dwordx4 v[112:115], v230, s[8:9] offset:864
	v_mul_lo_u16_sdwa v136, v224, s12 dst_sel:DWORD dst_unused:UNUSED_PAD src0_sel:BYTE_0 src1_sel:DWORD
	v_lshrrev_b16_e32 v136, 13, v136
	v_mul_lo_u16_e32 v136, 60, v136
	v_sub_u16_e32 v136, v224, v136
	v_accvgpr_read_b32 v0, a3
	v_and_b32_e32 v137, 0xff, v136
	ds_read_b128 v[164:167], v228 offset:28800
	ds_read_b128 v[116:119], v228 offset:29760
	ds_read_b128 v[12:15], v0
	v_accvgpr_read_b32 v0, a1
	v_mul_u32_u24_e32 v136, 5, v137
	ds_read_b128 v[8:11], v0
	ds_read_b128 v[104:107], v228 offset:7680
	ds_read_b128 v[80:83], v228 offset:8640
	;; [unrolled: 1-line block ×10, first 2 shown]
	v_accvgpr_read_b32 v0, a2
	v_lshlrev_b32_e32 v174, 4, v136
	ds_read_b128 v[16:19], v0
	ds_read_b128 v[40:43], v228 offset:32640
	ds_read_b128 v[4:7], v228 offset:3840
	;; [unrolled: 1-line block ×11, first 2 shown]
	ds_read_b128 v[20:23], v228
	ds_read_b128 v[24:27], v228 offset:33600
	v_accvgpr_write_b32 a7, v137
	global_load_dwordx4 v[136:139], v174, s[8:9] offset:816
	global_load_dwordx4 v[152:155], v174, s[8:9] offset:800
	v_accvgpr_read_b32 v254, a4
	v_mov_b32_e32 v231, 0
	s_waitcnt vmcnt(6) lgkmcnt(14)
	v_mul_f64 v[148:149], v[142:143], v[146:147]
	v_fma_f64 v[184:185], v[140:141], v[144:145], -v[148:149]
	v_mul_f64 v[186:187], v[140:141], v[146:147]
	s_waitcnt vmcnt(5)
	v_mul_f64 v[140:141], v[162:163], v[126:127]
	v_fma_f64 v[140:141], v[160:161], v[124:125], -v[140:141]
	v_mul_f64 v[204:205], v[160:161], v[126:127]
	v_mul_lo_u16_sdwa v160, v226, s12 dst_sel:DWORD dst_unused:UNUSED_PAD src0_sel:BYTE_0 src1_sel:DWORD
	v_lshrrev_b16_e32 v160, 13, v160
	v_mul_lo_u16_e32 v160, 60, v160
	v_sub_u16_e32 v175, v226, v160
	v_accvgpr_write_b32 a10, v140
	v_and_b32_e32 v175, 0xff, v175
	v_fmac_f64_e32 v[186:187], v[142:143], v[144:145]
	v_accvgpr_write_b32 a11, v141
	global_load_dwordx4 v[140:143], v174, s[8:9] offset:848
	global_load_dwordx4 v[148:151], v174, s[8:9] offset:832
	v_fmac_f64_e32 v[204:205], v[162:163], v[124:125]
	global_load_dwordx4 v[160:163], v174, s[8:9] offset:864
	v_mul_u32_u24_e32 v174, 5, v175
	s_waitcnt vmcnt(7)
	v_mul_f64 v[208:209], v[170:171], v[110:111]
	v_mul_f64 v[168:169], v[172:173], v[110:111]
	v_lshlrev_b32_e32 v188, 4, v174
	v_fmac_f64_e32 v[208:209], v[172:173], v[108:109]
	s_waitcnt vmcnt(6)
	v_mul_f64 v[172:173], v[214:215], v[98:99]
	s_mov_b32 s12, 0x8889
	v_accvgpr_write_b32 a9, v175
	global_load_dwordx4 v[180:183], v188, s[8:9] offset:800
	v_fma_f64 v[252:253], v[170:171], v[108:109], -v[168:169]
	global_load_dwordx4 v[168:171], v188, s[8:9] offset:832
	global_load_dwordx4 v[176:179], v188, s[8:9] offset:816
	v_fma_f64 v[206:207], v[212:213], v[96:97], -v[172:173]
	global_load_dwordx4 v[172:175], v188, s[8:9] offset:848
	global_load_dwordx4 v[232:235], v188, s[8:9] offset:864
	v_mul_u32_u24_sdwa v188, v254, s12 dst_sel:DWORD dst_unused:UNUSED_PAD src0_sel:WORD_0 src1_sel:DWORD
	v_lshrrev_b32_e32 v188, 21, v188
	v_mul_lo_u16_e32 v188, 60, v188
	v_sub_u16_e32 v189, v254, v188
	v_mul_u32_u24_e32 v188, 5, v189
	v_mul_f64 v[212:213], v[212:213], v[98:99]
	v_accvgpr_write_b32 a4, v189
	v_lshlrev_b32_e32 v192, 4, v188
	s_waitcnt vmcnt(10)
	v_mul_f64 v[188:189], v[166:167], v[114:115]
	v_fmac_f64_e32 v[212:213], v[214:215], v[96:97]
	v_fma_f64 v[214:215], v[164:165], v[112:113], -v[188:189]
	v_mul_f64 v[216:217], v[164:165], v[114:115]
	v_mul_f64 v[164:165], v[158:159], v[146:147]
	;; [unrolled: 1-line block ×3, first 2 shown]
	v_fma_f64 v[164:165], v[156:157], v[144:145], -v[164:165]
	v_fmac_f64_e32 v[146:147], v[158:159], v[144:145]
	v_mul_f64 v[144:145], v[134:135], v[126:127]
	v_fma_f64 v[156:157], v[132:133], v[124:125], -v[144:145]
	v_mul_u32_u24_sdwa v144, v255, s12 dst_sel:DWORD dst_unused:UNUSED_PAD src0_sel:WORD_0 src1_sel:DWORD
	global_load_dwordx4 v[236:239], v192, s[8:9] offset:816
	global_load_dwordx4 v[240:243], v192, s[8:9] offset:800
	v_lshrrev_b32_e32 v144, 21, v144
	v_mul_lo_u16_e32 v144, 60, v144
	global_load_dwordx4 v[244:247], v192, s[8:9] offset:848
	global_load_dwordx4 v[248:251], v192, s[8:9] offset:832
	v_sub_u16_e32 v229, v255, v144
	v_mul_u32_u24_e32 v144, 5, v229
	global_load_dwordx4 v[196:199], v192, s[8:9] offset:864
	v_lshlrev_b32_e32 v158, 4, v144
	global_load_dwordx4 v[224:227], v158, s[8:9] offset:800
	v_mul_f64 v[188:189], v[132:133], v[126:127]
	v_fmac_f64_e32 v[188:189], v[134:135], v[124:125]
	global_load_dwordx4 v[132:135], v158, s[8:9] offset:832
	global_load_dwordx4 v[124:127], v158, s[8:9] offset:816
	v_mul_f64 v[144:145], v[130:131], v[110:111]
	v_mul_f64 v[254:255], v[128:129], v[110:111]
	v_fma_f64 v[220:221], v[128:129], v[108:109], -v[144:145]
	v_fmac_f64_e32 v[254:255], v[130:131], v[108:109]
	global_load_dwordx4 v[200:203], v158, s[8:9] offset:848
	global_load_dwordx4 v[128:131], v158, s[8:9] offset:864
	v_mul_f64 v[108:109], v[122:123], v[98:99]
	v_mul_f64 v[194:195], v[120:121], v[98:99]
	v_fma_f64 v[108:109], v[120:121], v[96:97], -v[108:109]
	v_fmac_f64_e32 v[194:195], v[122:123], v[96:97]
	v_mul_f64 v[96:97], v[118:119], v[114:115]
	v_fma_f64 v[122:123], v[116:117], v[112:113], -v[96:97]
	s_waitcnt vmcnt(18)
	v_mul_f64 v[96:97], v[106:107], v[154:155]
	v_fma_f64 v[158:159], v[104:105], v[152:153], -v[96:97]
	v_mul_f64 v[96:97], v[102:103], v[138:139]
	v_fmac_f64_e32 v[216:217], v[166:167], v[112:113]
	v_mul_f64 v[154:155], v[104:105], v[154:155]
	v_fma_f64 v[166:167], v[100:101], v[136:137], -v[96:97]
	v_fmac_f64_e32 v[154:155], v[106:107], v[152:153]
	v_mul_f64 v[218:219], v[100:101], v[138:139]
	v_fmac_f64_e32 v[218:219], v[102:103], v[136:137]
	v_mul_f64 v[192:193], v[116:117], v[114:115]
	v_fmac_f64_e32 v[192:193], v[118:119], v[112:113]
	s_waitcnt lgkmcnt(0)
	; wave barrier
	s_waitcnt lgkmcnt(0)
	v_lshl_add_u64 v[116:117], s[8:9], 0, v[230:231]
	s_mov_b64 s[12:13], 0x15e0
	s_waitcnt vmcnt(17)
	v_mul_f64 v[104:105], v[88:89], v[142:143]
	s_waitcnt vmcnt(16)
	v_mul_f64 v[96:97], v[94:95], v[150:151]
	v_fma_f64 v[152:153], v[92:93], v[148:149], -v[96:97]
	v_mul_f64 v[150:151], v[92:93], v[150:151]
	v_mul_f64 v[92:93], v[90:91], v[142:143]
	v_fma_f64 v[222:223], v[88:89], v[140:141], -v[92:93]
	s_waitcnt vmcnt(15)
	v_mul_f64 v[88:89], v[86:87], v[162:163]
	v_fmac_f64_e32 v[150:151], v[94:95], v[148:149]
	v_fma_f64 v[148:149], v[84:85], v[160:161], -v[88:89]
	v_mul_f64 v[162:163], v[84:85], v[162:163]
	v_fmac_f64_e32 v[162:163], v[86:87], v[160:161]
	v_fmac_f64_e32 v[104:105], v[90:91], v[140:141]
	s_waitcnt vmcnt(14)
	v_mul_f64 v[84:85], v[82:83], v[182:183]
	v_fma_f64 v[94:95], v[80:81], v[180:181], -v[84:85]
	v_mul_f64 v[96:97], v[80:81], v[182:183]
	s_waitcnt vmcnt(12)
	v_mul_f64 v[80:81], v[78:79], v[178:179]
	v_fma_f64 v[92:93], v[76:77], v[176:177], -v[80:81]
	v_mul_f64 v[98:99], v[76:77], v[178:179]
	v_mul_f64 v[76:77], v[74:75], v[170:171]
	v_fma_f64 v[84:85], v[72:73], v[168:169], -v[76:77]
	v_mul_f64 v[86:87], v[72:73], v[170:171]
	s_waitcnt vmcnt(11)
	v_mul_f64 v[72:73], v[70:71], v[174:175]
	v_fma_f64 v[100:101], v[68:69], v[172:173], -v[72:73]
	v_mul_f64 v[102:103], v[68:69], v[174:175]
	s_waitcnt vmcnt(10)
	v_mul_f64 v[68:69], v[62:63], v[234:235]
	v_fma_f64 v[88:89], v[60:61], v[232:233], -v[68:69]
	v_mul_f64 v[90:91], v[60:61], v[234:235]
	v_fmac_f64_e32 v[86:87], v[74:75], v[168:169]
	v_fmac_f64_e32 v[102:103], v[70:71], v[172:173]
	;; [unrolled: 1-line block ×5, first 2 shown]
	s_waitcnt vmcnt(9)
	v_mul_f64 v[140:141], v[56:57], v[238:239]
	s_waitcnt vmcnt(8)
	v_mul_f64 v[60:61], v[66:67], v[242:243]
	v_fma_f64 v[114:115], v[64:65], v[240:241], -v[60:61]
	v_mul_f64 v[60:61], v[58:59], v[238:239]
	v_fma_f64 v[112:113], v[56:57], v[236:237], -v[60:61]
	s_waitcnt vmcnt(6)
	v_mul_f64 v[56:57], v[54:55], v[250:251]
	v_fma_f64 v[174:175], v[52:53], v[248:249], -v[56:57]
	v_mul_f64 v[106:107], v[52:53], v[250:251]
	v_mul_f64 v[52:53], v[50:51], v[246:247]
	v_fma_f64 v[142:143], v[48:49], v[244:245], -v[52:53]
	v_mul_f64 v[144:145], v[48:49], v[246:247]
	s_waitcnt vmcnt(5)
	v_mul_f64 v[48:49], v[42:43], v[198:199]
	v_fma_f64 v[170:171], v[40:41], v[196:197], -v[48:49]
	v_mul_f64 v[110:111], v[40:41], v[198:199]
	s_waitcnt vmcnt(4)
	v_mul_f64 v[40:41], v[46:47], v[226:227]
	v_fma_f64 v[118:119], v[44:45], v[224:225], -v[40:41]
	s_waitcnt vmcnt(2)
	v_mul_f64 v[40:41], v[38:39], v[126:127]
	v_mul_f64 v[168:169], v[36:37], v[126:127]
	v_fma_f64 v[160:161], v[36:37], v[124:125], -v[40:41]
	v_fmac_f64_e32 v[168:169], v[38:39], v[124:125]
	v_mul_f64 v[36:37], v[34:35], v[134:135]
	v_mul_f64 v[124:125], v[32:33], v[134:135]
	v_fma_f64 v[172:173], v[32:33], v[132:133], -v[36:37]
	v_fmac_f64_e32 v[124:125], v[34:35], v[132:133]
	s_waitcnt vmcnt(1)
	v_mul_f64 v[32:33], v[30:31], v[202:203]
	s_waitcnt vmcnt(0)
	v_mul_f64 v[132:133], v[24:25], v[130:131]
	v_fma_f64 v[134:135], v[28:29], v[200:201], -v[32:33]
	v_mul_f64 v[136:137], v[28:29], v[202:203]
	v_mul_f64 v[28:29], v[26:27], v[130:131]
	v_fmac_f64_e32 v[132:133], v[26:27], v[128:129]
	v_accvgpr_read_b32 v27, a11
	v_accvgpr_read_b32 v26, a10
	v_fma_f64 v[126:127], v[24:25], v[128:129], -v[28:29]
	v_add_f64 v[24:25], v[20:21], v[26:27]
	v_add_f64 v[36:37], v[24:25], v[206:207]
	;; [unrolled: 1-line block ×3, first 2 shown]
	v_fmac_f64_e32 v[20:21], -0.5, v[24:25]
	v_add_f64 v[24:25], v[204:205], -v[212:213]
	v_fma_f64 v[38:39], s[10:11], v[24:25], v[20:21]
	v_fmac_f64_e32 v[20:21], s[4:5], v[24:25]
	v_add_f64 v[24:25], v[22:23], v[204:205]
	v_fmac_f64_e32 v[110:111], v[42:43], v[196:197]
	v_add_f64 v[42:43], v[24:25], v[212:213]
	v_add_f64 v[24:25], v[204:205], v[212:213]
	v_fmac_f64_e32 v[22:23], -0.5, v[24:25]
	v_add_f64 v[24:25], v[26:27], -v[206:207]
	v_mul_f64 v[120:121], v[44:45], v[226:227]
	v_fma_f64 v[44:45], s[4:5], v[24:25], v[22:23]
	v_fmac_f64_e32 v[22:23], s[10:11], v[24:25]
	v_add_f64 v[24:25], v[184:185], v[252:253]
	v_add_f64 v[40:41], v[24:25], v[214:215]
	;; [unrolled: 1-line block ×3, first 2 shown]
	v_fmac_f64_e32 v[184:185], -0.5, v[24:25]
	v_add_f64 v[24:25], v[208:209], -v[216:217]
	v_fmac_f64_e32 v[136:137], v[30:31], v[200:201]
	v_fma_f64 v[30:31], s[10:11], v[24:25], v[184:185]
	v_fmac_f64_e32 v[184:185], s[4:5], v[24:25]
	v_add_f64 v[24:25], v[186:187], v[208:209]
	v_fmac_f64_e32 v[120:121], v[46:47], v[224:225]
	v_add_f64 v[46:47], v[24:25], v[216:217]
	v_add_f64 v[24:25], v[208:209], v[216:217]
	v_fmac_f64_e32 v[186:187], -0.5, v[24:25]
	v_add_f64 v[24:25], v[252:253], -v[214:215]
	v_fma_f64 v[34:35], s[4:5], v[24:25], v[186:187]
	v_mul_f64 v[48:49], v[34:35], s[10:11]
	v_mul_f64 v[52:53], v[30:31], s[4:5]
	v_fmac_f64_e32 v[48:49], 0.5, v[30:31]
	v_fmac_f64_e32 v[52:53], 0.5, v[34:35]
	v_fmac_f64_e32 v[186:187], s[10:11], v[24:25]
	v_add_f64 v[24:25], v[36:37], v[40:41]
	v_add_f64 v[28:29], v[38:39], v[48:49]
	;; [unrolled: 1-line block ×3, first 2 shown]
	v_add_f64 v[40:41], v[36:37], -v[40:41]
	v_add_f64 v[36:37], v[38:39], -v[48:49]
	;; [unrolled: 1-line block ×3, first 2 shown]
	v_add_f64 v[44:45], v[16:17], v[156:157]
	v_add_f64 v[56:57], v[44:45], v[108:109]
	;; [unrolled: 1-line block ×3, first 2 shown]
	v_fmac_f64_e32 v[16:17], -0.5, v[44:45]
	v_add_f64 v[44:45], v[188:189], -v[194:195]
	v_fmac_f64_e32 v[140:141], v[58:59], v[236:237]
	v_fma_f64 v[58:59], s[10:11], v[44:45], v[16:17]
	v_fmac_f64_e32 v[16:17], s[4:5], v[44:45]
	v_add_f64 v[44:45], v[18:19], v[188:189]
	v_add_f64 v[62:63], v[44:45], v[194:195]
	;; [unrolled: 1-line block ×3, first 2 shown]
	v_fmac_f64_e32 v[18:19], -0.5, v[44:45]
	v_add_f64 v[44:45], v[156:157], -v[108:109]
	v_mul_f64 v[138:139], v[64:65], v[242:243]
	v_fma_f64 v[64:65], s[4:5], v[44:45], v[18:19]
	v_fmac_f64_e32 v[18:19], s[10:11], v[44:45]
	v_add_f64 v[44:45], v[164:165], v[220:221]
	v_fmac_f64_e32 v[144:145], v[50:51], v[244:245]
	v_mul_f64 v[50:51], v[184:185], -0.5
	v_add_f64 v[60:61], v[44:45], v[122:123]
	v_add_f64 v[44:45], v[220:221], v[122:123]
	v_fmac_f64_e32 v[50:51], s[10:11], v[186:187]
	v_fmac_f64_e32 v[164:165], -0.5, v[44:45]
	v_add_f64 v[44:45], v[254:255], -v[192:193]
	v_add_f64 v[32:33], v[20:21], v[50:51]
	v_add_f64 v[20:21], v[20:21], -v[50:51]
	v_fma_f64 v[50:51], s[10:11], v[44:45], v[164:165]
	v_fmac_f64_e32 v[164:165], s[4:5], v[44:45]
	v_add_f64 v[44:45], v[146:147], v[254:255]
	v_fmac_f64_e32 v[138:139], v[66:67], v[240:241]
	v_fmac_f64_e32 v[106:107], v[54:55], v[248:249]
	v_mul_f64 v[54:55], v[186:187], -0.5
	v_add_f64 v[66:67], v[44:45], v[192:193]
	v_add_f64 v[44:45], v[254:255], v[192:193]
	v_fmac_f64_e32 v[54:55], s[4:5], v[184:185]
	v_fmac_f64_e32 v[146:147], -0.5, v[44:45]
	v_add_f64 v[44:45], v[220:221], -v[122:123]
	v_add_f64 v[34:35], v[22:23], v[54:55]
	v_add_f64 v[22:23], v[22:23], -v[54:55]
	v_fma_f64 v[54:55], s[4:5], v[44:45], v[146:147]
	v_mul_f64 v[68:69], v[54:55], s[10:11]
	v_mul_f64 v[72:73], v[50:51], s[4:5]
	v_fmac_f64_e32 v[68:69], 0.5, v[50:51]
	v_fmac_f64_e32 v[72:73], 0.5, v[54:55]
	v_fmac_f64_e32 v[146:147], s[10:11], v[44:45]
	v_add_f64 v[44:45], v[56:57], v[60:61]
	v_add_f64 v[48:49], v[58:59], v[68:69]
	;; [unrolled: 1-line block ×3, first 2 shown]
	v_add_f64 v[60:61], v[56:57], -v[60:61]
	v_add_f64 v[56:57], v[58:59], -v[68:69]
	;; [unrolled: 1-line block ×3, first 2 shown]
	v_add_f64 v[64:65], v[12:13], v[166:167]
	v_add_f64 v[76:77], v[64:65], v[222:223]
	v_add_f64 v[64:65], v[166:167], v[222:223]
	v_fmac_f64_e32 v[12:13], -0.5, v[64:65]
	v_add_f64 v[64:65], v[218:219], -v[104:105]
	v_fma_f64 v[78:79], s[10:11], v[64:65], v[12:13]
	v_fmac_f64_e32 v[12:13], s[4:5], v[64:65]
	v_add_f64 v[64:65], v[14:15], v[218:219]
	v_add_f64 v[82:83], v[64:65], v[104:105]
	;; [unrolled: 1-line block ×3, first 2 shown]
	v_fmac_f64_e32 v[14:15], -0.5, v[64:65]
	v_add_f64 v[64:65], v[166:167], -v[222:223]
	v_fma_f64 v[104:105], s[4:5], v[64:65], v[14:15]
	v_fmac_f64_e32 v[14:15], s[10:11], v[64:65]
	v_add_f64 v[64:65], v[158:159], v[152:153]
	v_mul_f64 v[70:71], v[164:165], -0.5
	v_add_f64 v[80:81], v[64:65], v[148:149]
	v_add_f64 v[64:65], v[152:153], v[148:149]
	v_fmac_f64_e32 v[70:71], s[10:11], v[146:147]
	v_fmac_f64_e32 v[158:159], -0.5, v[64:65]
	v_add_f64 v[64:65], v[150:151], -v[162:163]
	v_add_f64 v[52:53], v[16:17], v[70:71]
	v_add_f64 v[16:17], v[16:17], -v[70:71]
	v_fma_f64 v[70:71], s[10:11], v[64:65], v[158:159]
	v_fmac_f64_e32 v[158:159], s[4:5], v[64:65]
	v_add_f64 v[64:65], v[154:155], v[150:151]
	v_mul_f64 v[74:75], v[146:147], -0.5
	v_add_f64 v[108:109], v[64:65], v[162:163]
	v_add_f64 v[64:65], v[150:151], v[162:163]
	v_fmac_f64_e32 v[74:75], s[4:5], v[164:165]
	v_fmac_f64_e32 v[154:155], -0.5, v[64:65]
	v_add_f64 v[64:65], v[152:153], -v[148:149]
	v_add_f64 v[54:55], v[18:19], v[74:75]
	v_add_f64 v[18:19], v[18:19], -v[74:75]
	v_fma_f64 v[74:75], s[4:5], v[64:65], v[154:155]
	v_mul_f64 v[122:123], v[74:75], s[10:11]
	v_mul_f64 v[130:131], v[70:71], s[4:5]
	v_add_f64 v[26:27], v[42:43], v[46:47]
	v_add_f64 v[42:43], v[42:43], -v[46:47]
	v_add_f64 v[46:47], v[62:63], v[66:67]
	v_add_f64 v[62:63], v[62:63], -v[66:67]
	v_fmac_f64_e32 v[122:123], 0.5, v[70:71]
	v_add_f64 v[66:67], v[82:83], v[108:109]
	v_fmac_f64_e32 v[130:131], 0.5, v[74:75]
	v_add_f64 v[82:83], v[82:83], -v[108:109]
	v_add_f64 v[108:109], v[92:93], v[100:101]
	v_fmac_f64_e32 v[154:155], s[10:11], v[64:65]
	v_add_f64 v[64:65], v[76:77], v[80:81]
	v_add_f64 v[68:69], v[78:79], v[122:123]
	;; [unrolled: 1-line block ×3, first 2 shown]
	v_add_f64 v[80:81], v[76:77], -v[80:81]
	v_add_f64 v[76:77], v[78:79], -v[122:123]
	;; [unrolled: 1-line block ×3, first 2 shown]
	v_add_f64 v[104:105], v[8:9], v[92:93]
	v_fmac_f64_e32 v[8:9], -0.5, v[108:109]
	v_add_f64 v[108:109], v[98:99], -v[102:103]
	v_fma_f64 v[122:123], s[10:11], v[108:109], v[8:9]
	v_fmac_f64_e32 v[8:9], s[4:5], v[108:109]
	v_add_f64 v[108:109], v[10:11], v[98:99]
	v_add_f64 v[98:99], v[98:99], v[102:103]
	v_fmac_f64_e32 v[10:11], -0.5, v[98:99]
	v_add_f64 v[92:93], v[92:93], -v[100:101]
	v_fma_f64 v[98:99], s[4:5], v[92:93], v[10:11]
	v_fmac_f64_e32 v[10:11], s[10:11], v[92:93]
	v_add_f64 v[92:93], v[94:95], v[84:85]
	v_add_f64 v[104:105], v[104:105], v[100:101]
	;; [unrolled: 1-line block ×4, first 2 shown]
	v_fmac_f64_e32 v[94:95], -0.5, v[92:93]
	v_add_f64 v[92:93], v[86:87], -v[90:91]
	v_mul_f64 v[128:129], v[158:159], -0.5
	v_add_f64 v[108:109], v[108:109], v[102:103]
	v_fma_f64 v[102:103], s[10:11], v[92:93], v[94:95]
	v_fmac_f64_e32 v[94:95], s[4:5], v[92:93]
	v_add_f64 v[92:93], v[96:97], v[86:87]
	v_add_f64 v[86:87], v[86:87], v[90:91]
	v_fmac_f64_e32 v[128:129], s[10:11], v[154:155]
	v_fmac_f64_e32 v[96:97], -0.5, v[86:87]
	v_add_f64 v[84:85], v[84:85], -v[88:89]
	v_add_f64 v[72:73], v[12:13], v[128:129]
	v_mul_f64 v[146:147], v[154:155], -0.5
	v_add_f64 v[12:13], v[12:13], -v[128:129]
	v_add_f64 v[128:129], v[92:93], v[90:91]
	v_fma_f64 v[90:91], s[4:5], v[84:85], v[96:97]
	v_fmac_f64_e32 v[146:147], s[4:5], v[158:159]
	v_mul_f64 v[130:131], v[90:91], s[10:11]
	v_add_f64 v[74:75], v[14:15], v[146:147]
	v_add_f64 v[14:15], v[14:15], -v[146:147]
	v_fmac_f64_e32 v[96:97], s[10:11], v[84:85]
	v_add_f64 v[84:85], v[104:105], v[100:101]
	v_fmac_f64_e32 v[130:131], 0.5, v[102:103]
	v_mul_f64 v[146:147], v[94:95], -0.5
	v_add_f64 v[100:101], v[104:105], -v[100:101]
	v_add_f64 v[104:105], v[4:5], v[112:113]
	v_add_f64 v[88:89], v[122:123], v[130:131]
	v_fmac_f64_e32 v[146:147], s[10:11], v[96:97]
	v_mul_f64 v[150:151], v[96:97], -0.5
	v_add_f64 v[96:97], v[122:123], -v[130:131]
	v_add_f64 v[122:123], v[104:105], v[142:143]
	v_add_f64 v[104:105], v[112:113], v[142:143]
	v_fmac_f64_e32 v[4:5], -0.5, v[104:105]
	v_add_f64 v[104:105], v[140:141], -v[144:145]
	v_fma_f64 v[130:131], s[10:11], v[104:105], v[4:5]
	v_fmac_f64_e32 v[4:5], s[4:5], v[104:105]
	v_add_f64 v[104:105], v[6:7], v[140:141]
	v_add_f64 v[92:93], v[8:9], v[146:147]
	v_add_f64 v[8:9], v[8:9], -v[146:147]
	v_add_f64 v[146:147], v[104:105], v[144:145]
	v_add_f64 v[104:105], v[140:141], v[144:145]
	v_fmac_f64_e32 v[6:7], -0.5, v[104:105]
	v_add_f64 v[104:105], v[112:113], -v[142:143]
	v_fma_f64 v[140:141], s[4:5], v[104:105], v[6:7]
	v_fmac_f64_e32 v[6:7], s[10:11], v[104:105]
	v_add_f64 v[104:105], v[114:115], v[174:175]
	v_add_f64 v[86:87], v[108:109], v[128:129]
	v_mul_f64 v[148:149], v[102:103], s[4:5]
	v_add_f64 v[102:103], v[108:109], -v[128:129]
	v_add_f64 v[128:129], v[104:105], v[170:171]
	v_add_f64 v[104:105], v[174:175], v[170:171]
	v_fmac_f64_e32 v[114:115], -0.5, v[104:105]
	v_add_f64 v[104:105], v[106:107], -v[110:111]
	v_fma_f64 v[142:143], s[10:11], v[104:105], v[114:115]
	v_fmac_f64_e32 v[114:115], s[4:5], v[104:105]
	v_add_f64 v[104:105], v[138:139], v[106:107]
	v_add_f64 v[144:145], v[104:105], v[110:111]
	;; [unrolled: 1-line block ×3, first 2 shown]
	v_fmac_f64_e32 v[138:139], -0.5, v[104:105]
	v_add_f64 v[104:105], v[174:175], -v[170:171]
	v_fmac_f64_e32 v[148:149], 0.5, v[90:91]
	v_fma_f64 v[110:111], s[4:5], v[104:105], v[138:139]
	v_add_f64 v[90:91], v[98:99], v[148:149]
	v_fmac_f64_e32 v[150:151], s[4:5], v[94:95]
	v_add_f64 v[98:99], v[98:99], -v[148:149]
	v_mul_f64 v[148:149], v[110:111], s[10:11]
	v_add_f64 v[94:95], v[10:11], v[150:151]
	v_add_f64 v[10:11], v[10:11], -v[150:151]
	v_fmac_f64_e32 v[138:139], s[10:11], v[104:105]
	v_add_f64 v[104:105], v[122:123], v[128:129]
	v_fmac_f64_e32 v[148:149], 0.5, v[142:143]
	v_mul_f64 v[150:151], v[114:115], -0.5
	v_add_f64 v[128:129], v[122:123], -v[128:129]
	v_add_f64 v[122:123], v[0:1], v[160:161]
	v_add_f64 v[108:109], v[130:131], v[148:149]
	v_fmac_f64_e32 v[150:151], s[10:11], v[138:139]
	v_add_f64 v[106:107], v[146:147], v[144:145]
	v_mul_f64 v[152:153], v[138:139], -0.5
	v_add_f64 v[138:139], v[130:131], -v[148:149]
	v_add_f64 v[130:131], v[146:147], -v[144:145]
	v_add_f64 v[146:147], v[122:123], v[134:135]
	v_add_f64 v[122:123], v[160:161], v[134:135]
	v_fmac_f64_e32 v[0:1], -0.5, v[122:123]
	v_add_f64 v[122:123], v[168:169], -v[136:137]
	v_fma_f64 v[148:149], s[10:11], v[122:123], v[0:1]
	v_fmac_f64_e32 v[0:1], s[4:5], v[122:123]
	v_add_f64 v[122:123], v[2:3], v[168:169]
	v_add_f64 v[112:113], v[4:5], v[150:151]
	v_add_f64 v[4:5], v[4:5], -v[150:151]
	v_add_f64 v[150:151], v[122:123], v[136:137]
	v_add_f64 v[122:123], v[168:169], v[136:137]
	v_fmac_f64_e32 v[2:3], -0.5, v[122:123]
	v_add_f64 v[122:123], v[160:161], -v[134:135]
	v_fmac_f64_e32 v[152:153], s[4:5], v[114:115]
	v_fma_f64 v[136:137], s[4:5], v[122:123], v[2:3]
	v_fmac_f64_e32 v[2:3], s[10:11], v[122:123]
	v_add_f64 v[122:123], v[118:119], v[172:173]
	v_add_f64 v[114:115], v[6:7], v[152:153]
	v_add_f64 v[6:7], v[6:7], -v[152:153]
	v_add_f64 v[152:153], v[122:123], v[126:127]
	v_add_f64 v[122:123], v[172:173], v[126:127]
	v_fmac_f64_e32 v[118:119], -0.5, v[122:123]
	v_add_f64 v[122:123], v[124:125], -v[132:133]
	ds_write_b128 v228, v[24:27]
	ds_write_b128 v228, v[28:31] offset:960
	ds_write_b128 v228, v[32:35] offset:1920
	;; [unrolled: 1-line block ×11, first 2 shown]
	v_accvgpr_read_b32 v16, a7
	v_fma_f64 v[134:135], s[10:11], v[122:123], v[118:119]
	v_fmac_f64_e32 v[118:119], s[4:5], v[122:123]
	v_add_f64 v[122:123], v[120:121], v[124:125]
	v_lshl_add_u32 v16, v16, 4, 0
	v_add_f64 v[154:155], v[122:123], v[132:133]
	v_add_f64 v[122:123], v[124:125], v[132:133]
	ds_write_b128 v16, v[64:67] offset:11520
	ds_write_b128 v16, v[68:71] offset:12480
	;; [unrolled: 1-line block ×6, first 2 shown]
	v_accvgpr_read_b32 v12, a9
	v_fmac_f64_e32 v[120:121], -0.5, v[122:123]
	v_add_f64 v[122:123], v[172:173], -v[126:127]
	v_lshl_add_u32 v12, v12, 4, 0
	v_mul_f64 v[142:143], v[142:143], s[4:5]
	v_fma_f64 v[126:127], s[4:5], v[122:123], v[120:121]
	v_fmac_f64_e32 v[120:121], s[10:11], v[122:123]
	v_mul_f64 v[158:159], v[118:119], -0.5
	v_mul_f64 v[160:161], v[134:135], s[4:5]
	ds_write_b128 v12, v[84:87] offset:17280
	ds_write_b128 v12, v[88:91] offset:18240
	ds_write_b128 v12, v[92:95] offset:19200
	ds_write_b128 v12, v[100:103] offset:20160
	ds_write_b128 v12, v[96:99] offset:21120
	ds_write_b128 v12, v[8:11] offset:22080
	v_accvgpr_read_b32 v8, a4
	v_fmac_f64_e32 v[142:143], 0.5, v[110:111]
	v_mul_f64 v[156:157], v[126:127], s[10:11]
	v_fmac_f64_e32 v[158:159], s[10:11], v[120:121]
	v_fmac_f64_e32 v[160:161], 0.5, v[126:127]
	v_mul_f64 v[126:127], v[120:121], -0.5
	v_lshl_add_u32 v8, v8, 4, 0
	v_add_f64 v[110:111], v[140:141], v[142:143]
	v_add_f64 v[140:141], v[140:141], -v[142:143]
	v_add_f64 v[122:123], v[146:147], v[152:153]
	v_fmac_f64_e32 v[156:157], 0.5, v[134:135]
	v_add_f64 v[142:143], v[0:1], v[158:159]
	v_add_f64 v[124:125], v[150:151], v[154:155]
	v_fmac_f64_e32 v[126:127], s[4:5], v[118:119]
	v_add_f64 v[0:1], v[0:1], -v[158:159]
	ds_write_b128 v8, v[104:107] offset:23040
	ds_write_b128 v8, v[108:111] offset:24000
	;; [unrolled: 1-line block ×6, first 2 shown]
	v_lshl_add_u32 v4, v229, 4, 0
	v_add_f64 v[132:133], v[148:149], v[156:157]
	v_add_f64 v[134:135], v[136:137], v[160:161]
	;; [unrolled: 1-line block ×3, first 2 shown]
	v_add_f64 v[118:119], v[146:147], -v[152:153]
	v_add_f64 v[146:147], v[148:149], -v[156:157]
	;; [unrolled: 1-line block ×5, first 2 shown]
	ds_write_b128 v4, v[122:125] offset:28800
	ds_write_b128 v4, v[132:135] offset:29760
	;; [unrolled: 1-line block ×6, first 2 shown]
	v_add_co_u32_e32 v0, vcc, s14, v116
	s_waitcnt lgkmcnt(0)
	s_nop 0
	v_addc_co_u32_e32 v1, vcc, 0, v117, vcc
	; wave barrier
	global_load_dwordx4 v[132:135], v[0:1], off offset:1504
	v_lshl_add_u64 v[2:3], v[116:117], 0, s[12:13]
	global_load_dwordx4 v[144:147], v[2:3], off offset:16
	global_load_dwordx4 v[172:175], v[2:3], off offset:32
	;; [unrolled: 1-line block ×3, first 2 shown]
	ds_read_b128 v[136:139], v228 offset:5760
	ds_read_b128 v[120:123], v228 offset:6720
	;; [unrolled: 1-line block ×8, first 2 shown]
	global_load_dwordx4 v[152:155], v[0:1], off offset:1568
	v_accvgpr_read_b32 v0, a3
	ds_read_b128 v[156:159], v228 offset:28800
	ds_read_b128 v[68:71], v228 offset:29760
	ds_read_b128 v[12:15], v0
	v_accvgpr_read_b32 v0, a1
	ds_read_b128 v[8:11], v0
	v_accvgpr_read_b32 v0, a0
	v_mul_i32_i24_e32 v230, 5, v0
	v_lshl_add_u64 v[0:1], v[230:231], 4, s[8:9]
	v_add_co_u32_e32 v140, vcc, s14, v0
	ds_read_b128 v[220:223], v228 offset:7680
	ds_read_b128 v[32:35], v228 offset:8640
	;; [unrolled: 1-line block ×4, first 2 shown]
	v_addc_co_u32_e32 v141, vcc, 0, v1, vcc
	global_load_dwordx4 v[160:163], v[140:141], off offset:1504
	v_lshl_add_u64 v[20:21], v[0:1], 0, s[12:13]
	ds_read_b128 v[104:107], v228 offset:19200
	ds_read_b128 v[64:67], v228 offset:20160
	global_load_dwordx4 v[168:171], v[20:21], off offset:16
	v_accvgpr_read_b32 v229, a2
	ds_read_b128 v[112:115], v228 offset:24960
	ds_read_b128 v[100:103], v228 offset:25920
	;; [unrolled: 1-line block ×4, first 2 shown]
	ds_read_b128 v[16:19], v229
	ds_read_b128 v[48:51], v228 offset:32640
	ds_read_b128 v[4:7], v228 offset:3840
	;; [unrolled: 1-line block ×9, first 2 shown]
	global_load_dwordx4 v[124:127], v[20:21], off offset:48
	global_load_dwordx4 v[128:131], v[20:21], off offset:32
	v_accvgpr_read_b32 v60, a8
	v_mul_i32_i24_e32 v230, 5, v60
	ds_read_b128 v[84:87], v228 offset:26880
	ds_read_b128 v[40:43], v228 offset:27840
	ds_read_b128 v[20:23], v228
	ds_read_b128 v[28:31], v228 offset:33600
	v_accvgpr_read_b32 v60, a6
	v_accvgpr_mov_b32 a7, a1
	v_accvgpr_write_b32 a1, v231
	v_accvgpr_mov_b32 a4, a8
	v_accvgpr_mov_b32 a2, a6
	s_waitcnt vmcnt(8) lgkmcnt(14)
	v_mul_f64 v[142:143], v[138:139], v[134:135]
	v_mul_f64 v[204:205], v[136:137], v[134:135]
	v_fma_f64 v[202:203], v[136:137], v[132:133], -v[142:143]
	v_fmac_f64_e32 v[204:205], v[138:139], v[132:133]
	global_load_dwordx4 v[132:135], v[140:141], off offset:1568
	v_lshl_add_u64 v[140:141], v[230:231], 4, s[8:9]
	v_add_co_u32_e32 v188, vcc, s14, v140
	s_waitcnt vmcnt(8)
	v_mul_f64 v[192:193], v[182:183], v[146:147]
	v_addc_co_u32_e32 v189, vcc, 0, v141, vcc
	global_load_dwordx4 v[136:139], v[188:189], off offset:1504
	v_lshl_add_u64 v[194:195], v[140:141], 0, s[12:13]
	v_mul_f64 v[212:213], v[180:181], v[146:147]
	global_load_dwordx4 v[140:143], v[194:195], off offset:32
	global_load_dwordx4 v[148:151], v[194:195], off offset:16
	v_fma_f64 v[192:193], v[180:181], v[144:145], -v[192:193]
	v_fmac_f64_e32 v[212:213], v[182:183], v[144:145]
	s_waitcnt vmcnt(10)
	v_mul_f64 v[144:145], v[186:187], v[174:175]
	v_mul_i32_i24_e32 v230, 5, v60
	v_fma_f64 v[206:207], v[184:185], v[172:173], -v[144:145]
	v_mul_f64 v[208:209], v[184:185], v[174:175]
	v_lshl_add_u64 v[184:185], v[230:231], 4, s[8:9]
	v_fmac_f64_e32 v[208:209], v[186:187], v[172:173]
	global_load_dwordx4 v[144:147], v[194:195], off offset:48
	global_load_dwordx4 v[172:175], v[188:189], off offset:1568
	v_add_co_u32_e32 v194, vcc, s14, v184
	v_accvgpr_read_b32 v60, a5
	s_nop 0
	v_addc_co_u32_e32 v195, vcc, 0, v185, vcc
	global_load_dwordx4 v[180:183], v[194:195], off offset:1504
	s_waitcnt vmcnt(12)
	v_mul_f64 v[186:187], v[178:179], v[166:167]
	v_lshl_add_u64 v[188:189], v[184:185], 0, s[12:13]
	v_mul_u32_u24_e32 v60, 5, v60
	v_fma_f64 v[200:201], v[176:177], v[164:165], -v[186:187]
	global_load_dwordx4 v[184:187], v[188:189], off offset:16
	v_mul_f64 v[218:219], v[176:177], v[166:167]
	v_lshlrev_b32_e32 v230, 4, v60
	v_fmac_f64_e32 v[218:219], v[178:179], v[164:165]
	global_load_dwordx4 v[164:167], v[188:189], off offset:48
	global_load_dwordx4 v[176:179], v[188:189], off offset:32
	;; [unrolled: 1-line block ×3, first 2 shown]
	v_lshl_add_u64 v[194:195], s[8:9], 0, v[230:231]
	s_waitcnt vmcnt(15)
	v_mul_f64 v[188:189], v[158:159], v[154:155]
	v_add_co_u32_e32 v214, vcc, s14, v194
	v_fma_f64 v[188:189], v[156:157], v[152:153], -v[188:189]
	v_mul_f64 v[156:157], v[156:157], v[154:155]
	v_addc_co_u32_e32 v215, vcc, 0, v195, vcc
	global_load_dwordx4 v[230:233], v[214:215], off offset:1504
	v_fmac_f64_e32 v[156:157], v[158:159], v[152:153]
	v_lshl_add_u64 v[158:159], v[194:195], 0, s[12:13]
	global_load_dwordx4 v[234:237], v[158:159], off offset:32
	global_load_dwordx4 v[238:241], v[158:159], off offset:16
	s_waitcnt vmcnt(17)
	v_mul_f64 v[152:153], v[122:123], v[162:163]
	v_fma_f64 v[152:153], v[120:121], v[160:161], -v[152:153]
	v_mul_f64 v[154:155], v[120:121], v[162:163]
	s_waitcnt vmcnt(16)
	v_mul_f64 v[120:121], v[118:119], v[170:171]
	v_mul_f64 v[170:171], v[116:117], v[170:171]
	s_movk_i32 s12, 0x2000
	v_fmac_f64_e32 v[154:155], v[122:123], v[160:161]
	v_fma_f64 v[162:163], v[116:117], v[168:169], -v[120:121]
	global_load_dwordx4 v[120:123], v[158:159], off offset:48
	v_fmac_f64_e32 v[170:171], v[118:119], v[168:169]
	global_load_dwordx4 v[116:119], v[214:215], off offset:1568
	v_add_co_u32_e32 v158, vcc, s12, v194
	s_mov_b64 s[12:13], 0x28a0
	s_nop 0
	v_addc_co_u32_e32 v159, vcc, 0, v195, vcc
	global_load_dwordx4 v[242:245], v[158:159], off offset:2208
	v_lshl_add_u64 v[160:161], v[194:195], 0, s[12:13]
	global_load_dwordx4 v[246:249], v[160:161], off offset:16
	s_waitcnt vmcnt(18)
	v_mul_f64 v[168:169], v[78:79], v[130:131]
	global_load_dwordx4 v[250:253], v[160:161], off offset:48
	global_load_dwordx4 v[214:217], v[160:161], off offset:32
	v_fma_f64 v[224:225], v[76:77], v[128:129], -v[168:169]
	v_mul_f64 v[194:195], v[76:77], v[130:131]
	v_mul_f64 v[76:77], v[74:75], v[126:127]
	;; [unrolled: 1-line block ×3, first 2 shown]
	v_fma_f64 v[254:255], v[72:73], v[124:125], -v[76:77]
	v_fmac_f64_e32 v[168:169], v[74:75], v[124:125]
	global_load_dwordx4 v[124:127], v[158:159], off offset:2272
	v_fmac_f64_e32 v[194:195], v[78:79], v[128:129]
	s_waitcnt lgkmcnt(0)
	; wave barrier
	s_waitcnt vmcnt(20) lgkmcnt(0)
	v_mul_f64 v[72:73], v[70:71], v[134:135]
	v_fma_f64 v[158:159], v[68:69], v[132:133], -v[72:73]
	v_mul_f64 v[60:61], v[68:69], v[134:135]
	v_fmac_f64_e32 v[60:61], v[70:71], v[132:133]
	s_waitcnt vmcnt(19)
	v_mul_f64 v[62:63], v[222:223], v[138:139]
	v_fma_f64 v[74:75], v[220:221], v[136:137], -v[62:63]
	v_mul_f64 v[76:77], v[220:221], v[138:139]
	s_waitcnt vmcnt(17)
	v_mul_f64 v[62:63], v[58:59], v[150:151]
	v_fmac_f64_e32 v[76:77], v[222:223], v[136:137]
	v_fma_f64 v[220:221], v[56:57], v[148:149], -v[62:63]
	v_mul_f64 v[222:223], v[56:57], v[150:151]
	v_mul_f64 v[56:57], v[106:107], v[142:143]
	v_fma_f64 v[68:69], v[104:105], v[140:141], -v[56:57]
	v_fmac_f64_e32 v[222:223], v[58:59], v[148:149]
	v_mul_f64 v[70:71], v[104:105], v[142:143]
	s_waitcnt vmcnt(16)
	v_mul_f64 v[56:57], v[114:115], v[146:147]
	v_fma_f64 v[226:227], v[112:113], v[144:145], -v[56:57]
	s_waitcnt vmcnt(15)
	v_mul_f64 v[56:57], v[110:111], v[174:175]
	v_mul_f64 v[132:133], v[112:113], v[146:147]
	v_fma_f64 v[72:73], v[108:109], v[172:173], -v[56:57]
	v_fmac_f64_e32 v[132:133], v[114:115], v[144:145]
	v_mul_f64 v[78:79], v[108:109], v[174:175]
	s_waitcnt vmcnt(14)
	v_mul_f64 v[56:57], v[34:35], v[182:183]
	v_fma_f64 v[144:145], v[32:33], v[180:181], -v[56:57]
	v_mul_f64 v[146:147], v[32:33], v[182:183]
	v_fmac_f64_e32 v[146:147], v[34:35], v[180:181]
	v_fmac_f64_e32 v[70:71], v[106:107], v[140:141]
	s_waitcnt vmcnt(13)
	v_mul_f64 v[32:33], v[26:27], v[186:187]
	v_fma_f64 v[180:181], v[24:25], v[184:185], -v[32:33]
	v_mul_f64 v[160:161], v[24:25], v[186:187]
	v_fmac_f64_e32 v[78:79], v[110:111], v[172:173]
	s_waitcnt vmcnt(11)
	v_mul_f64 v[24:25], v[66:67], v[178:179]
	v_fma_f64 v[148:149], v[64:65], v[176:177], -v[24:25]
	v_mul_f64 v[24:25], v[102:103], v[166:167]
	v_fma_f64 v[174:175], v[100:101], v[164:165], -v[24:25]
	s_waitcnt vmcnt(10)
	v_mul_f64 v[24:25], v[94:95], v[198:199]
	v_mul_f64 v[166:167], v[100:101], v[166:167]
	v_fma_f64 v[100:101], v[92:93], v[196:197], -v[24:25]
	v_fmac_f64_e32 v[166:167], v[102:103], v[164:165]
	v_mul_f64 v[150:151], v[64:65], v[178:179]
	v_fmac_f64_e32 v[150:151], v[66:67], v[176:177]
	s_waitcnt vmcnt(9)
	v_mul_f64 v[24:25], v[98:99], v[232:233]
	v_fma_f64 v[114:115], v[96:97], v[230:231], -v[24:25]
	s_waitcnt vmcnt(8)
	v_mul_f64 v[106:107], v[80:81], v[236:237]
	s_waitcnt vmcnt(7)
	v_mul_f64 v[24:25], v[90:91], v[240:241]
	v_fma_f64 v[112:113], v[88:89], v[238:239], -v[24:25]
	v_mul_f64 v[24:25], v[82:83], v[236:237]
	v_fma_f64 v[104:105], v[80:81], v[234:235], -v[24:25]
	v_fmac_f64_e32 v[106:107], v[82:83], v[234:235]
	v_fmac_f64_e32 v[160:161], v[26:27], v[184:185]
	v_mul_f64 v[138:139], v[88:89], v[240:241]
	v_mul_f64 v[92:93], v[92:93], v[198:199]
	v_fmac_f64_e32 v[138:139], v[90:91], v[238:239]
	s_waitcnt vmcnt(6)
	v_mul_f64 v[24:25], v[86:87], v[122:123]
	v_fma_f64 v[140:141], v[84:85], v[120:121], -v[24:25]
	s_waitcnt vmcnt(5)
	v_mul_f64 v[24:25], v[50:51], v[118:119]
	v_fma_f64 v[108:109], v[48:49], v[116:117], -v[24:25]
	v_mul_f64 v[110:111], v[48:49], v[118:119]
	v_fmac_f64_e32 v[110:111], v[50:51], v[116:117]
	v_mul_f64 v[142:143], v[84:85], v[122:123]
	v_fmac_f64_e32 v[142:143], v[86:87], v[120:121]
	s_waitcnt vmcnt(4)
	v_mul_f64 v[24:25], v[54:55], v[244:245]
	v_fma_f64 v[116:117], v[52:53], v[242:243], -v[24:25]
	s_waitcnt vmcnt(3)
	v_mul_f64 v[24:25], v[46:47], v[248:249]
	v_fma_f64 v[164:165], v[44:45], v[246:247], -v[24:25]
	;; [unrolled: 3-line block ×3, first 2 shown]
	v_mul_f64 v[24:25], v[42:43], v[252:253]
	v_fma_f64 v[176:177], v[40:41], v[250:251], -v[24:25]
	v_mul_f64 v[122:123], v[36:37], v[216:217]
	v_fmac_f64_e32 v[122:123], v[38:39], v[214:215]
	v_mul_f64 v[134:135], v[40:41], v[252:253]
	s_waitcnt vmcnt(0)
	v_mul_f64 v[24:25], v[30:31], v[126:127]
	v_fma_f64 v[172:173], v[28:29], v[124:125], -v[24:25]
	v_add_f64 v[24:25], v[20:21], v[192:193]
	v_add_f64 v[36:37], v[24:25], v[200:201]
	v_add_f64 v[24:25], v[192:193], v[200:201]
	v_fmac_f64_e32 v[20:21], -0.5, v[24:25]
	v_add_f64 v[24:25], v[212:213], -v[218:219]
	v_fma_f64 v[38:39], s[10:11], v[24:25], v[20:21]
	v_fmac_f64_e32 v[20:21], s[4:5], v[24:25]
	v_add_f64 v[24:25], v[22:23], v[212:213]
	v_fmac_f64_e32 v[134:135], v[42:43], v[250:251]
	v_add_f64 v[42:43], v[24:25], v[218:219]
	v_add_f64 v[24:25], v[212:213], v[218:219]
	v_fmac_f64_e32 v[22:23], -0.5, v[24:25]
	v_add_f64 v[24:25], v[192:193], -v[200:201]
	v_mul_f64 v[128:129], v[44:45], v[248:249]
	v_fma_f64 v[44:45], s[4:5], v[24:25], v[22:23]
	v_fmac_f64_e32 v[22:23], s[10:11], v[24:25]
	v_add_f64 v[24:25], v[202:203], v[206:207]
	v_add_f64 v[40:41], v[24:25], v[188:189]
	;; [unrolled: 1-line block ×3, first 2 shown]
	v_mul_f64 v[130:131], v[28:29], v[126:127]
	v_fmac_f64_e32 v[202:203], -0.5, v[24:25]
	v_add_f64 v[24:25], v[208:209], -v[156:157]
	v_fmac_f64_e32 v[130:131], v[30:31], v[124:125]
	v_fma_f64 v[30:31], s[10:11], v[24:25], v[202:203]
	v_fmac_f64_e32 v[202:203], s[4:5], v[24:25]
	v_add_f64 v[24:25], v[204:205], v[208:209]
	v_fmac_f64_e32 v[128:129], v[46:47], v[246:247]
	v_add_f64 v[46:47], v[24:25], v[156:157]
	v_add_f64 v[24:25], v[208:209], v[156:157]
	v_fmac_f64_e32 v[204:205], -0.5, v[24:25]
	v_add_f64 v[24:25], v[206:207], -v[188:189]
	v_fma_f64 v[34:35], s[4:5], v[24:25], v[204:205]
	v_mul_f64 v[118:119], v[52:53], v[244:245]
	v_mul_f64 v[48:49], v[34:35], s[10:11]
	;; [unrolled: 1-line block ×3, first 2 shown]
	v_fmac_f64_e32 v[48:49], 0.5, v[30:31]
	v_fmac_f64_e32 v[52:53], 0.5, v[34:35]
	v_fmac_f64_e32 v[204:205], s[10:11], v[24:25]
	v_add_f64 v[24:25], v[36:37], v[40:41]
	v_add_f64 v[28:29], v[38:39], v[48:49]
	v_add_f64 v[30:31], v[44:45], v[52:53]
	v_add_f64 v[40:41], v[36:37], -v[40:41]
	v_add_f64 v[36:37], v[38:39], -v[48:49]
	;; [unrolled: 1-line block ×3, first 2 shown]
	v_add_f64 v[44:45], v[16:17], v[162:163]
	v_add_f64 v[56:57], v[44:45], v[254:255]
	;; [unrolled: 1-line block ×3, first 2 shown]
	v_fmac_f64_e32 v[16:17], -0.5, v[44:45]
	v_add_f64 v[44:45], v[170:171], -v[168:169]
	v_fma_f64 v[58:59], s[10:11], v[44:45], v[16:17]
	v_fmac_f64_e32 v[16:17], s[4:5], v[44:45]
	v_add_f64 v[44:45], v[18:19], v[170:171]
	v_add_f64 v[62:63], v[44:45], v[168:169]
	;; [unrolled: 1-line block ×3, first 2 shown]
	v_fmac_f64_e32 v[18:19], -0.5, v[44:45]
	v_add_f64 v[44:45], v[162:163], -v[254:255]
	v_fma_f64 v[64:65], s[4:5], v[44:45], v[18:19]
	v_fmac_f64_e32 v[18:19], s[10:11], v[44:45]
	v_add_f64 v[44:45], v[152:153], v[224:225]
	v_mul_f64 v[50:51], v[202:203], -0.5
	v_add_f64 v[66:67], v[44:45], v[158:159]
	v_add_f64 v[44:45], v[224:225], v[158:159]
	v_fmac_f64_e32 v[50:51], s[10:11], v[204:205]
	v_fmac_f64_e32 v[152:153], -0.5, v[44:45]
	v_add_f64 v[44:45], v[194:195], -v[60:61]
	v_add_f64 v[32:33], v[20:21], v[50:51]
	v_add_f64 v[20:21], v[20:21], -v[50:51]
	v_fma_f64 v[50:51], s[10:11], v[44:45], v[152:153]
	v_fmac_f64_e32 v[152:153], s[4:5], v[44:45]
	v_add_f64 v[44:45], v[154:155], v[194:195]
	v_fmac_f64_e32 v[118:119], v[54:55], v[242:243]
	v_mul_f64 v[54:55], v[204:205], -0.5
	v_add_f64 v[80:81], v[44:45], v[60:61]
	v_add_f64 v[44:45], v[194:195], v[60:61]
	v_fmac_f64_e32 v[54:55], s[4:5], v[202:203]
	v_fmac_f64_e32 v[154:155], -0.5, v[44:45]
	v_add_f64 v[44:45], v[224:225], -v[158:159]
	v_add_f64 v[34:35], v[22:23], v[54:55]
	v_add_f64 v[22:23], v[22:23], -v[54:55]
	v_fma_f64 v[54:55], s[4:5], v[44:45], v[154:155]
	v_mul_f64 v[82:83], v[54:55], s[10:11]
	v_mul_f64 v[86:87], v[50:51], s[4:5]
	v_fmac_f64_e32 v[82:83], 0.5, v[50:51]
	v_fmac_f64_e32 v[86:87], 0.5, v[54:55]
	v_fmac_f64_e32 v[154:155], s[10:11], v[44:45]
	v_add_f64 v[44:45], v[56:57], v[66:67]
	v_add_f64 v[48:49], v[58:59], v[82:83]
	;; [unrolled: 1-line block ×3, first 2 shown]
	v_add_f64 v[60:61], v[56:57], -v[66:67]
	v_add_f64 v[56:57], v[58:59], -v[82:83]
	;; [unrolled: 1-line block ×3, first 2 shown]
	v_add_f64 v[64:65], v[12:13], v[220:221]
	v_add_f64 v[26:27], v[42:43], v[46:47]
	v_add_f64 v[42:43], v[42:43], -v[46:47]
	v_add_f64 v[46:47], v[62:63], v[80:81]
	v_add_f64 v[62:63], v[62:63], -v[80:81]
	v_add_f64 v[80:81], v[64:65], v[226:227]
	v_add_f64 v[64:65], v[220:221], v[226:227]
	v_mul_f64 v[84:85], v[152:153], -0.5
	v_fmac_f64_e32 v[12:13], -0.5, v[64:65]
	v_add_f64 v[64:65], v[222:223], -v[132:133]
	v_fmac_f64_e32 v[84:85], s[10:11], v[154:155]
	v_fma_f64 v[82:83], s[10:11], v[64:65], v[12:13]
	v_fmac_f64_e32 v[12:13], s[4:5], v[64:65]
	v_add_f64 v[64:65], v[14:15], v[222:223]
	v_add_f64 v[52:53], v[16:17], v[84:85]
	v_add_f64 v[16:17], v[16:17], -v[84:85]
	v_add_f64 v[84:85], v[64:65], v[132:133]
	v_add_f64 v[64:65], v[222:223], v[132:133]
	v_mul_f64 v[88:89], v[154:155], -0.5
	v_fmac_f64_e32 v[14:15], -0.5, v[64:65]
	v_add_f64 v[64:65], v[220:221], -v[226:227]
	v_fmac_f64_e32 v[88:89], s[4:5], v[152:153]
	v_fma_f64 v[86:87], s[4:5], v[64:65], v[14:15]
	v_fmac_f64_e32 v[14:15], s[10:11], v[64:65]
	v_add_f64 v[64:65], v[74:75], v[68:69]
	v_add_f64 v[54:55], v[18:19], v[88:89]
	v_add_f64 v[18:19], v[18:19], -v[88:89]
	v_add_f64 v[88:89], v[64:65], v[72:73]
	v_add_f64 v[64:65], v[68:69], v[72:73]
	v_fmac_f64_e32 v[74:75], -0.5, v[64:65]
	v_add_f64 v[64:65], v[70:71], -v[78:79]
	v_fma_f64 v[90:91], s[10:11], v[64:65], v[74:75]
	v_fmac_f64_e32 v[74:75], s[4:5], v[64:65]
	v_add_f64 v[64:65], v[76:77], v[70:71]
	v_fmac_f64_e32 v[92:93], v[94:95], v[196:197]
	v_add_f64 v[94:95], v[64:65], v[78:79]
	v_add_f64 v[64:65], v[70:71], v[78:79]
	v_fmac_f64_e32 v[76:77], -0.5, v[64:65]
	v_add_f64 v[64:65], v[68:69], -v[72:73]
	v_fma_f64 v[70:71], s[4:5], v[64:65], v[76:77]
	v_mul_f64 v[78:79], v[70:71], s[10:11]
	v_mul_f64 v[136:137], v[96:97], v[232:233]
	v_fmac_f64_e32 v[76:77], s[10:11], v[64:65]
	v_fmac_f64_e32 v[78:79], 0.5, v[90:91]
	v_mul_f64 v[96:97], v[74:75], -0.5
	v_fmac_f64_e32 v[136:137], v[98:99], v[230:231]
	v_add_f64 v[68:69], v[82:83], v[78:79]
	v_fmac_f64_e32 v[96:97], s[10:11], v[76:77]
	v_add_f64 v[66:67], v[84:85], v[94:95]
	v_mul_f64 v[98:99], v[76:77], -0.5
	v_add_f64 v[76:77], v[82:83], -v[78:79]
	v_add_f64 v[82:83], v[84:85], -v[94:95]
	v_add_f64 v[84:85], v[8:9], v[180:181]
	v_add_f64 v[72:73], v[12:13], v[96:97]
	v_add_f64 v[12:13], v[12:13], -v[96:97]
	v_add_f64 v[96:97], v[84:85], v[174:175]
	v_add_f64 v[84:85], v[180:181], v[174:175]
	v_fmac_f64_e32 v[98:99], s[4:5], v[74:75]
	v_fmac_f64_e32 v[8:9], -0.5, v[84:85]
	v_add_f64 v[84:85], v[160:161], -v[166:167]
	v_add_f64 v[74:75], v[14:15], v[98:99]
	v_add_f64 v[14:15], v[14:15], -v[98:99]
	v_fma_f64 v[98:99], s[10:11], v[84:85], v[8:9]
	v_fmac_f64_e32 v[8:9], s[4:5], v[84:85]
	v_add_f64 v[84:85], v[10:11], v[160:161]
	v_add_f64 v[102:103], v[84:85], v[166:167]
	;; [unrolled: 1-line block ×3, first 2 shown]
	v_fmac_f64_e32 v[10:11], -0.5, v[84:85]
	v_add_f64 v[84:85], v[180:181], -v[174:175]
	v_fma_f64 v[124:125], s[4:5], v[84:85], v[10:11]
	v_fmac_f64_e32 v[10:11], s[10:11], v[84:85]
	v_add_f64 v[84:85], v[144:145], v[148:149]
	v_mul_f64 v[90:91], v[90:91], s[4:5]
	v_add_f64 v[126:127], v[84:85], v[100:101]
	v_add_f64 v[84:85], v[148:149], v[100:101]
	v_fmac_f64_e32 v[90:91], 0.5, v[70:71]
	v_fmac_f64_e32 v[144:145], -0.5, v[84:85]
	v_add_f64 v[84:85], v[150:151], -v[92:93]
	v_add_f64 v[70:71], v[86:87], v[90:91]
	v_add_f64 v[78:79], v[86:87], -v[90:91]
	v_fma_f64 v[90:91], s[10:11], v[84:85], v[144:145]
	v_fmac_f64_e32 v[144:145], s[4:5], v[84:85]
	v_add_f64 v[84:85], v[146:147], v[150:151]
	v_add_f64 v[132:133], v[84:85], v[92:93]
	;; [unrolled: 1-line block ×3, first 2 shown]
	v_fmac_f64_e32 v[146:147], -0.5, v[84:85]
	v_add_f64 v[84:85], v[148:149], -v[100:101]
	v_fma_f64 v[94:95], s[4:5], v[84:85], v[146:147]
	v_mul_f64 v[148:149], v[94:95], s[10:11]
	v_mul_f64 v[152:153], v[90:91], s[4:5]
	v_fmac_f64_e32 v[146:147], s[10:11], v[84:85]
	v_add_f64 v[84:85], v[96:97], v[126:127]
	v_fmac_f64_e32 v[148:149], 0.5, v[90:91]
	v_fmac_f64_e32 v[152:153], 0.5, v[94:95]
	v_add_f64 v[100:101], v[96:97], -v[126:127]
	v_add_f64 v[126:127], v[112:113], v[140:141]
	v_add_f64 v[64:65], v[80:81], v[88:89]
	v_add_f64 v[80:81], v[80:81], -v[88:89]
	v_add_f64 v[88:89], v[98:99], v[148:149]
	v_add_f64 v[90:91], v[124:125], v[152:153]
	v_add_f64 v[96:97], v[98:99], -v[148:149]
	v_add_f64 v[98:99], v[124:125], -v[152:153]
	v_add_f64 v[124:125], v[4:5], v[112:113]
	v_fmac_f64_e32 v[4:5], -0.5, v[126:127]
	v_add_f64 v[126:127], v[138:139], -v[142:143]
	v_add_f64 v[86:87], v[102:103], v[132:133]
	v_add_f64 v[102:103], v[102:103], -v[132:133]
	v_fma_f64 v[132:133], s[10:11], v[126:127], v[4:5]
	v_fmac_f64_e32 v[4:5], s[4:5], v[126:127]
	v_add_f64 v[126:127], v[6:7], v[138:139]
	v_add_f64 v[138:139], v[138:139], v[142:143]
	v_fmac_f64_e32 v[6:7], -0.5, v[138:139]
	v_add_f64 v[112:113], v[112:113], -v[140:141]
	v_fma_f64 v[138:139], s[4:5], v[112:113], v[6:7]
	v_fmac_f64_e32 v[6:7], s[10:11], v[112:113]
	v_add_f64 v[112:113], v[114:115], v[104:105]
	v_add_f64 v[124:125], v[124:125], v[140:141]
	;; [unrolled: 1-line block ×4, first 2 shown]
	v_fmac_f64_e32 v[114:115], -0.5, v[112:113]
	v_add_f64 v[112:113], v[106:107], -v[110:111]
	v_mul_f64 v[150:151], v[144:145], -0.5
	v_add_f64 v[126:127], v[126:127], v[142:143]
	v_fma_f64 v[142:143], s[10:11], v[112:113], v[114:115]
	v_fmac_f64_e32 v[114:115], s[4:5], v[112:113]
	v_add_f64 v[112:113], v[136:137], v[106:107]
	v_add_f64 v[106:107], v[106:107], v[110:111]
	v_fmac_f64_e32 v[150:151], s[10:11], v[146:147]
	v_mul_f64 v[146:147], v[146:147], -0.5
	v_fmac_f64_e32 v[136:137], -0.5, v[106:107]
	v_add_f64 v[104:105], v[104:105], -v[108:109]
	v_fmac_f64_e32 v[146:147], s[4:5], v[144:145]
	v_add_f64 v[144:145], v[112:113], v[110:111]
	v_fma_f64 v[110:111], s[4:5], v[104:105], v[136:137]
	v_add_f64 v[94:95], v[10:11], v[146:147]
	v_add_f64 v[10:11], v[10:11], -v[146:147]
	v_mul_f64 v[146:147], v[110:111], s[10:11]
	v_fmac_f64_e32 v[136:137], s[10:11], v[104:105]
	v_fmac_f64_e32 v[146:147], 0.5, v[142:143]
	v_mul_f64 v[148:149], v[114:115], -0.5
	v_add_f64 v[92:93], v[8:9], v[150:151]
	v_add_f64 v[8:9], v[8:9], -v[150:151]
	v_add_f64 v[108:109], v[132:133], v[146:147]
	v_fmac_f64_e32 v[148:149], s[10:11], v[136:137]
	v_mul_f64 v[150:151], v[136:137], -0.5
	v_add_f64 v[136:137], v[132:133], -v[146:147]
	v_add_f64 v[132:133], v[0:1], v[164:165]
	v_add_f64 v[104:105], v[124:125], v[140:141]
	v_mul_f64 v[142:143], v[142:143], s[4:5]
	v_add_f64 v[124:125], v[124:125], -v[140:141]
	v_add_f64 v[140:141], v[132:133], v[176:177]
	v_add_f64 v[132:133], v[164:165], v[176:177]
	v_fmac_f64_e32 v[142:143], 0.5, v[110:111]
	v_fmac_f64_e32 v[0:1], -0.5, v[132:133]
	v_add_f64 v[132:133], v[128:129], -v[134:135]
	v_add_f64 v[110:111], v[138:139], v[142:143]
	v_add_f64 v[138:139], v[138:139], -v[142:143]
	v_fma_f64 v[142:143], s[10:11], v[132:133], v[0:1]
	v_fmac_f64_e32 v[0:1], s[4:5], v[132:133]
	v_add_f64 v[132:133], v[2:3], v[128:129]
	v_add_f64 v[128:129], v[128:129], v[134:135]
	v_fmac_f64_e32 v[2:3], -0.5, v[128:129]
	v_add_f64 v[128:129], v[164:165], -v[176:177]
	v_fma_f64 v[146:147], s[4:5], v[128:129], v[2:3]
	v_fmac_f64_e32 v[2:3], s[10:11], v[128:129]
	v_add_f64 v[128:129], v[116:117], v[120:121]
	v_add_f64 v[112:113], v[4:5], v[148:149]
	v_add_f64 v[4:5], v[4:5], -v[148:149]
	v_add_f64 v[148:149], v[128:129], v[172:173]
	v_add_f64 v[128:129], v[120:121], v[172:173]
	v_fmac_f64_e32 v[116:117], -0.5, v[128:129]
	v_add_f64 v[128:129], v[122:123], -v[130:131]
	v_add_f64 v[106:107], v[126:127], v[144:145]
	v_add_f64 v[126:127], v[126:127], -v[144:145]
	v_add_f64 v[144:145], v[132:133], v[134:135]
	v_fma_f64 v[134:135], s[10:11], v[128:129], v[116:117]
	v_fmac_f64_e32 v[116:117], s[4:5], v[128:129]
	v_add_f64 v[128:129], v[118:119], v[122:123]
	v_add_f64 v[122:123], v[122:123], v[130:131]
	v_fmac_f64_e32 v[150:151], s[4:5], v[114:115]
	v_fmac_f64_e32 v[118:119], -0.5, v[122:123]
	v_add_f64 v[120:121], v[120:121], -v[172:173]
	v_add_f64 v[114:115], v[6:7], v[150:151]
	v_add_f64 v[6:7], v[6:7], -v[150:151]
	v_add_f64 v[150:151], v[128:129], v[130:131]
	v_fma_f64 v[130:131], s[4:5], v[120:121], v[118:119]
	v_fmac_f64_e32 v[118:119], s[10:11], v[120:121]
	v_mul_f64 v[154:155], v[116:117], -0.5
	v_mul_f64 v[158:159], v[118:119], -0.5
	v_mul_f64 v[152:153], v[130:131], s[10:11]
	v_fmac_f64_e32 v[154:155], s[10:11], v[118:119]
	v_mul_f64 v[156:157], v[134:135], s[4:5]
	v_fmac_f64_e32 v[158:159], s[4:5], v[116:117]
	v_fmac_f64_e32 v[152:153], 0.5, v[134:135]
	v_add_f64 v[132:133], v[0:1], v[154:155]
	v_fmac_f64_e32 v[156:157], 0.5, v[130:131]
	v_add_f64 v[134:135], v[2:3], v[158:159]
	v_add_f64 v[0:1], v[0:1], -v[154:155]
	v_add_f64 v[2:3], v[2:3], -v[158:159]
	ds_write_b128 v228, v[24:27]
	ds_write_b128 v228, v[28:31] offset:5760
	ds_write_b128 v228, v[32:35] offset:11520
	v_accvgpr_read_b32 v35, a3
	v_add_f64 v[120:121], v[140:141], v[148:149]
	v_add_f64 v[128:129], v[142:143], v[152:153]
	;; [unrolled: 1-line block ×4, first 2 shown]
	v_add_f64 v[116:117], v[140:141], -v[148:149]
	v_add_f64 v[140:141], v[142:143], -v[152:153]
	;; [unrolled: 1-line block ×4, first 2 shown]
	ds_write_b128 v228, v[40:43] offset:17280
	ds_write_b128 v228, v[36:39] offset:23040
	;; [unrolled: 1-line block ×3, first 2 shown]
	ds_write_b128 v229, v[44:47]
	ds_write_b128 v229, v[48:51] offset:5760
	ds_write_b128 v229, v[52:55] offset:11520
	;; [unrolled: 1-line block ×5, first 2 shown]
	v_accvgpr_read_b32 v19, a7
	ds_write_b128 v35, v[64:67]
	ds_write_b128 v35, v[68:71] offset:5760
	ds_write_b128 v35, v[72:75] offset:11520
	;; [unrolled: 1-line block ×5, first 2 shown]
	ds_write_b128 v19, v[84:87]
	ds_write_b128 v19, v[88:91] offset:5760
	ds_write_b128 v19, v[92:95] offset:11520
	ds_write_b128 v19, v[100:103] offset:17280
	ds_write_b128 v19, v[96:99] offset:23040
	ds_write_b128 v19, v[8:11] offset:28800
	ds_write_b128 v228, v[104:107] offset:3840
	ds_write_b128 v228, v[108:111] offset:9600
	ds_write_b128 v228, v[112:115] offset:15360
	ds_write_b128 v228, v[124:127] offset:21120
	ds_write_b128 v228, v[136:139] offset:26880
	ds_write_b128 v228, v[4:7] offset:32640
	ds_write_b128 v228, v[120:123] offset:4800
	ds_write_b128 v228, v[128:131] offset:10560
	ds_write_b128 v228, v[132:135] offset:16320
	ds_write_b128 v228, v[116:119] offset:22080
	ds_write_b128 v228, v[140:143] offset:27840
	ds_write_b128 v228, v[0:3] offset:33600
	s_waitcnt lgkmcnt(0)
	; wave barrier
	s_waitcnt lgkmcnt(0)
	ds_read_b128 v[0:3], v228
	v_accvgpr_read_b32 v161, a12            ;  Reload Reuse
	v_accvgpr_read_b32 v160, a13            ;  Reload Reuse
	s_add_u32 s4, s8, 0x8660
	v_lshlrev_b32_e32 v4, 4, v160
	s_addc_u32 s5, s9, 0
	v_sub_u32_e32 v18, 0, v4
	v_cmp_ne_u32_e32 vcc, 0, v160
                                        ; implicit-def: $vgpr6_vgpr7
                                        ; implicit-def: $vgpr10_vgpr11
                                        ; implicit-def: $vgpr8_vgpr9
	s_and_saveexec_b64 s[8:9], vcc
	s_xor_b64 s[8:9], exec, s[8:9]
	s_cbranch_execz .LBB0_17
; %bb.16:
	v_accvgpr_read_b32 v161, a1
	v_lshl_add_u64 v[4:5], v[160:161], 4, s[4:5]
	global_load_dwordx4 v[4:7], v[4:5], off
	ds_read_b128 v[8:11], v18 offset:34560
	s_waitcnt lgkmcnt(0)
	v_add_f64 v[12:13], v[0:1], v[8:9]
	v_add_f64 v[0:1], v[0:1], -v[8:9]
	v_add_f64 v[14:15], v[2:3], v[10:11]
	v_mul_f64 v[0:1], v[0:1], 0.5
	v_add_f64 v[2:3], v[2:3], -v[10:11]
	v_mul_f64 v[8:9], v[14:15], 0.5
	v_mul_f64 v[2:3], v[2:3], 0.5
	s_waitcnt vmcnt(0)
	v_mul_f64 v[14:15], v[0:1], v[6:7]
	v_fma_f64 v[16:17], 0.5, v[12:13], v[14:15]
	v_fma_f64 v[10:11], v[8:9], v[6:7], v[2:3]
	v_fma_f64 v[2:3], v[8:9], v[6:7], -v[2:3]
	v_fma_f64 v[12:13], v[12:13], 0.5, -v[14:15]
	v_fmac_f64_e32 v[16:17], v[8:9], v[4:5]
	v_fma_f64 v[10:11], -v[4:5], v[0:1], v[10:11]
	v_fma_f64 v[6:7], -v[4:5], v[0:1], v[2:3]
	;; [unrolled: 1-line block ×3, first 2 shown]
	ds_write_b64 v228, v[16:17]
	v_mov_b64_e32 v[8:9], v[160:161]
                                        ; implicit-def: $vgpr0_vgpr1
.LBB0_17:
	s_andn2_saveexec_b64 s[8:9], s[8:9]
	s_cbranch_execz .LBB0_19
; %bb.18:
	v_mov_b32_e32 v12, 0
	ds_read_b64 v[6:7], v12 offset:17288
	s_waitcnt lgkmcnt(1)
	v_add_f64 v[10:11], v[0:1], v[2:3]
	ds_write_b64 v228, v[10:11]
	v_mov_b64_e32 v[10:11], 0
	v_add_f64 v[4:5], v[0:1], -v[2:3]
	s_waitcnt lgkmcnt(1)
	v_xor_b32_e32 v7, 0x80000000, v7
	v_mov_b64_e32 v[8:9], 0
	ds_write_b64 v12, v[6:7] offset:17288
	v_mov_b64_e32 v[6:7], v[10:11]
.LBB0_19:
	s_or_b64 exec, exec, s[8:9]
	v_accvgpr_read_b32 v36, a0
	v_mov_b32_e32 v37, 0
	s_waitcnt lgkmcnt(0)
	v_lshl_add_u64 v[0:1], v[36:37], 4, s[4:5]
	global_load_dwordx4 v[0:3], v[0:1], off
	v_accvgpr_read_b32 v12, a4
	v_mov_b32_e32 v13, v37
	v_lshl_add_u64 v[12:13], v[12:13], 4, s[4:5]
	global_load_dwordx4 v[20:23], v[12:13], off
	v_accvgpr_read_b32 v12, a2
	v_mov_b32_e32 v13, v37
	v_lshl_add_u64 v[12:13], v[12:13], 4, s[4:5]
	global_load_dwordx4 v[24:27], v[12:13], off
	ds_write_b64 v228, v[10:11] offset:8
	ds_write_b128 v18, v[4:7] offset:34560
	v_lshl_add_u64 v[16:17], v[8:9], 4, s[4:5]
	ds_read_b128 v[4:7], v229
	ds_read_b128 v[10:13], v18 offset:33600
	global_load_dwordx4 v[28:31], v[16:17], off offset:3840
	s_movk_i32 s8, 0x1000
	v_or_b32_e32 v36, 0x3c0, v160
	s_waitcnt lgkmcnt(0)
	v_add_f64 v[8:9], v[4:5], v[10:11]
	v_add_f64 v[4:5], v[4:5], -v[10:11]
	v_add_f64 v[14:15], v[6:7], v[12:13]
	v_add_f64 v[6:7], v[6:7], -v[12:13]
	v_mul_f64 v[12:13], v[4:5], 0.5
	v_mul_f64 v[10:11], v[14:15], 0.5
	v_mul_f64 v[4:5], v[6:7], 0.5
	s_waitcnt vmcnt(3)
	v_mul_f64 v[6:7], v[12:13], v[2:3]
	v_fma_f64 v[14:15], v[10:11], v[2:3], v[4:5]
	v_fma_f64 v[32:33], v[10:11], v[2:3], -v[4:5]
	v_fma_f64 v[2:3], 0.5, v[8:9], v[6:7]
	v_fma_f64 v[4:5], -v[0:1], v[12:13], v[14:15]
	v_fma_f64 v[6:7], v[8:9], 0.5, -v[6:7]
	v_fma_f64 v[8:9], -v[0:1], v[12:13], v[32:33]
	v_fmac_f64_e32 v[2:3], v[10:11], v[0:1]
	v_add_co_u32_e32 v12, vcc, s8, v16
	v_fma_f64 v[6:7], -v[10:11], v[0:1], v[6:7]
	ds_write_b128 v229, v[2:5]
	ds_write_b128 v18, v[6:9] offset:33600
	v_addc_co_u32_e32 v13, vcc, 0, v17, vcc
	ds_read_b128 v[4:7], v35
	ds_read_b128 v[8:11], v18 offset:32640
	global_load_dwordx4 v[0:3], v[12:13], off offset:704
	s_movk_i32 s8, 0x2000
	s_waitcnt lgkmcnt(0)
	v_add_f64 v[14:15], v[4:5], v[8:9]
	v_add_f64 v[4:5], v[4:5], -v[8:9]
	v_add_f64 v[32:33], v[6:7], v[10:11]
	v_add_f64 v[6:7], v[6:7], -v[10:11]
	v_mul_f64 v[10:11], v[4:5], 0.5
	v_mul_f64 v[8:9], v[32:33], 0.5
	v_mul_f64 v[4:5], v[6:7], 0.5
	s_waitcnt vmcnt(3)
	v_mul_f64 v[32:33], v[10:11], v[22:23]
	v_fma_f64 v[6:7], v[8:9], v[22:23], v[4:5]
	v_fma_f64 v[22:23], v[8:9], v[22:23], -v[4:5]
	v_fma_f64 v[4:5], 0.5, v[14:15], v[32:33]
	v_fma_f64 v[6:7], -v[20:21], v[10:11], v[6:7]
	v_fma_f64 v[14:15], v[14:15], 0.5, -v[32:33]
	v_fmac_f64_e32 v[4:5], v[8:9], v[20:21]
	v_fma_f64 v[10:11], -v[20:21], v[10:11], v[22:23]
	v_fma_f64 v[8:9], -v[8:9], v[20:21], v[14:15]
	ds_write_b128 v35, v[4:7]
	ds_write_b128 v18, v[8:11] offset:32640
	ds_read_b128 v[8:11], v19
	ds_read_b128 v[20:23], v18 offset:31680
	global_load_dwordx4 v[4:7], v[12:13], off offset:1664
	s_waitcnt lgkmcnt(0)
	v_add_f64 v[14:15], v[8:9], v[20:21]
	v_add_f64 v[8:9], v[8:9], -v[20:21]
	v_add_f64 v[32:33], v[10:11], v[22:23]
	v_add_f64 v[10:11], v[10:11], -v[22:23]
	v_mul_f64 v[22:23], v[8:9], 0.5
	v_mul_f64 v[20:21], v[32:33], 0.5
	;; [unrolled: 1-line block ×3, first 2 shown]
	s_waitcnt vmcnt(3)
	v_mul_f64 v[32:33], v[22:23], v[26:27]
	v_fma_f64 v[10:11], v[20:21], v[26:27], v[8:9]
	v_fma_f64 v[26:27], v[20:21], v[26:27], -v[8:9]
	v_fma_f64 v[8:9], 0.5, v[14:15], v[32:33]
	v_fma_f64 v[10:11], -v[24:25], v[22:23], v[10:11]
	v_fma_f64 v[14:15], v[14:15], 0.5, -v[32:33]
	v_fmac_f64_e32 v[8:9], v[20:21], v[24:25]
	v_fma_f64 v[22:23], -v[24:25], v[22:23], v[26:27]
	v_fma_f64 v[20:21], -v[20:21], v[24:25], v[14:15]
	ds_write_b128 v19, v[8:11]
	ds_write_b128 v18, v[20:23] offset:31680
	ds_read_b128 v[20:23], v228 offset:3840
	ds_read_b128 v[24:27], v18 offset:30720
	global_load_dwordx4 v[8:11], v[12:13], off offset:2624
	s_waitcnt lgkmcnt(0)
	v_add_f64 v[14:15], v[20:21], v[24:25]
	v_add_f64 v[20:21], v[20:21], -v[24:25]
	v_add_f64 v[32:33], v[22:23], v[26:27]
	v_add_f64 v[22:23], v[22:23], -v[26:27]
	v_mul_f64 v[26:27], v[20:21], 0.5
	v_mul_f64 v[24:25], v[32:33], 0.5
	;; [unrolled: 1-line block ×3, first 2 shown]
	s_waitcnt vmcnt(3)
	v_mul_f64 v[32:33], v[26:27], v[30:31]
	v_fma_f64 v[22:23], v[24:25], v[30:31], v[20:21]
	v_fma_f64 v[30:31], v[24:25], v[30:31], -v[20:21]
	v_fma_f64 v[20:21], 0.5, v[14:15], v[32:33]
	v_fma_f64 v[22:23], -v[28:29], v[26:27], v[22:23]
	v_fma_f64 v[14:15], v[14:15], 0.5, -v[32:33]
	v_fmac_f64_e32 v[20:21], v[24:25], v[28:29]
	v_fma_f64 v[26:27], -v[28:29], v[26:27], v[30:31]
	v_fma_f64 v[24:25], -v[24:25], v[28:29], v[14:15]
	ds_write_b128 v228, v[20:23] offset:3840
	ds_write_b128 v18, v[24:27] offset:30720
	ds_read_b128 v[20:23], v228 offset:4800
	ds_read_b128 v[24:27], v18 offset:29760
	global_load_dwordx4 v[28:31], v[12:13], off offset:3584
	s_waitcnt lgkmcnt(0)
	v_add_f64 v[14:15], v[20:21], -v[24:25]
	v_add_f64 v[32:33], v[20:21], v[24:25]
	v_add_f64 v[12:13], v[22:23], v[26:27]
	v_add_f64 v[20:21], v[22:23], -v[26:27]
	v_mul_f64 v[24:25], v[14:15], 0.5
	v_mul_f64 v[22:23], v[12:13], 0.5
	;; [unrolled: 1-line block ×3, first 2 shown]
	s_waitcnt vmcnt(3)
	v_mul_f64 v[20:21], v[24:25], v[2:3]
	v_fma_f64 v[14:15], v[22:23], v[2:3], v[12:13]
	v_fma_f64 v[2:3], v[22:23], v[2:3], -v[12:13]
	v_fma_f64 v[12:13], 0.5, v[32:33], v[20:21]
	v_fma_f64 v[14:15], -v[0:1], v[24:25], v[14:15]
	v_fma_f64 v[20:21], v[32:33], 0.5, -v[20:21]
	v_fmac_f64_e32 v[12:13], v[22:23], v[0:1]
	v_add_co_u32_e32 v32, vcc, s8, v16
	v_fma_f64 v[2:3], -v[0:1], v[24:25], v[2:3]
	v_fma_f64 v[0:1], -v[22:23], v[0:1], v[20:21]
	ds_write_b128 v228, v[12:15] offset:4800
	ds_write_b128 v18, v[0:3] offset:29760
	v_addc_co_u32_e32 v33, vcc, 0, v17, vcc
	ds_read_b128 v[12:15], v228 offset:5760
	ds_read_b128 v[20:23], v18 offset:28800
	global_load_dwordx4 v[0:3], v[32:33], off offset:448
	s_movk_i32 s8, 0x3000
	v_add_co_u32_e32 v16, vcc, s8, v16
	s_waitcnt lgkmcnt(0)
	v_add_f64 v[24:25], v[12:13], v[20:21]
	v_add_f64 v[12:13], v[12:13], -v[20:21]
	v_add_f64 v[26:27], v[14:15], v[22:23]
	v_add_f64 v[14:15], v[14:15], -v[22:23]
	v_mul_f64 v[22:23], v[12:13], 0.5
	v_mul_f64 v[20:21], v[26:27], 0.5
	;; [unrolled: 1-line block ×3, first 2 shown]
	s_waitcnt vmcnt(3)
	v_mul_f64 v[34:35], v[22:23], v[6:7]
	v_fma_f64 v[12:13], 0.5, v[24:25], v[34:35]
	v_fma_f64 v[14:15], v[20:21], v[6:7], v[26:27]
	v_fmac_f64_e32 v[12:13], v[20:21], v[4:5]
	v_fma_f64 v[14:15], -v[4:5], v[22:23], v[14:15]
	ds_write_b128 v228, v[12:15] offset:5760
	v_fma_f64 v[12:13], v[24:25], 0.5, -v[34:35]
	v_fma_f64 v[6:7], v[20:21], v[6:7], -v[26:27]
	v_fma_f64 v[12:13], -v[20:21], v[4:5], v[12:13]
	v_fma_f64 v[14:15], -v[4:5], v[22:23], v[6:7]
	ds_write_b128 v18, v[12:15] offset:28800
	ds_read_b128 v[12:15], v228 offset:6720
	ds_read_b128 v[20:23], v18 offset:27840
	v_addc_co_u32_e32 v17, vcc, 0, v17, vcc
	s_waitcnt lgkmcnt(0)
	v_add_f64 v[24:25], v[12:13], v[20:21]
	v_add_f64 v[4:5], v[14:15], v[22:23]
	v_add_f64 v[12:13], v[12:13], -v[20:21]
	v_mul_f64 v[26:27], v[4:5], 0.5
	global_load_dwordx4 v[4:7], v[32:33], off offset:1408
	v_add_f64 v[14:15], v[14:15], -v[22:23]
	v_mul_f64 v[20:21], v[12:13], 0.5
	v_mul_f64 v[22:23], v[14:15], 0.5
	s_waitcnt vmcnt(3)
	v_mul_f64 v[34:35], v[20:21], v[10:11]
	v_fma_f64 v[12:13], 0.5, v[24:25], v[34:35]
	v_fma_f64 v[14:15], v[26:27], v[10:11], v[22:23]
	v_fmac_f64_e32 v[12:13], v[26:27], v[8:9]
	v_fma_f64 v[14:15], -v[8:9], v[20:21], v[14:15]
	ds_write_b128 v228, v[12:15] offset:6720
	v_fma_f64 v[12:13], v[24:25], 0.5, -v[34:35]
	v_fma_f64 v[10:11], v[26:27], v[10:11], -v[22:23]
	v_fma_f64 v[12:13], -v[26:27], v[8:9], v[12:13]
	v_fma_f64 v[14:15], -v[8:9], v[20:21], v[10:11]
	ds_write_b128 v18, v[12:15] offset:27840
	ds_read_b128 v[8:11], v228 offset:7680
	ds_read_b128 v[20:23], v18 offset:26880
	s_waitcnt lgkmcnt(0)
	v_add_f64 v[12:13], v[10:11], v[22:23]
	v_mul_f64 v[26:27], v[12:13], 0.5
	global_load_dwordx4 v[12:15], v[32:33], off offset:2368
	v_add_f64 v[24:25], v[8:9], v[20:21]
	v_add_f64 v[8:9], v[8:9], -v[20:21]
	v_add_f64 v[10:11], v[10:11], -v[22:23]
	v_mul_f64 v[20:21], v[8:9], 0.5
	v_mul_f64 v[22:23], v[10:11], 0.5
	s_waitcnt vmcnt(3)
	v_mul_f64 v[34:35], v[20:21], v[30:31]
	v_fma_f64 v[8:9], 0.5, v[24:25], v[34:35]
	v_fma_f64 v[10:11], v[26:27], v[30:31], v[22:23]
	v_fmac_f64_e32 v[8:9], v[26:27], v[28:29]
	v_fma_f64 v[10:11], -v[28:29], v[20:21], v[10:11]
	ds_write_b128 v228, v[8:11] offset:7680
	v_fma_f64 v[8:9], v[24:25], 0.5, -v[34:35]
	v_fma_f64 v[10:11], v[26:27], v[30:31], -v[22:23]
	v_fma_f64 v[8:9], -v[26:27], v[28:29], v[8:9]
	v_fma_f64 v[10:11], -v[28:29], v[20:21], v[10:11]
	ds_write_b128 v18, v[8:11] offset:26880
	ds_read_b128 v[20:23], v228 offset:8640
	ds_read_b128 v[24:27], v18 offset:25920
	global_load_dwordx4 v[8:11], v[32:33], off offset:3328
	s_waitcnt lgkmcnt(0)
	v_add_f64 v[28:29], v[20:21], v[24:25]
	v_add_f64 v[20:21], v[20:21], -v[24:25]
	v_add_f64 v[30:31], v[22:23], v[26:27]
	v_add_f64 v[22:23], v[22:23], -v[26:27]
	v_mul_f64 v[24:25], v[20:21], 0.5
	v_mul_f64 v[30:31], v[30:31], 0.5
	v_mul_f64 v[26:27], v[22:23], 0.5
	s_waitcnt vmcnt(3)
	v_mul_f64 v[32:33], v[24:25], v[2:3]
	v_fma_f64 v[20:21], 0.5, v[28:29], v[32:33]
	v_fma_f64 v[22:23], v[30:31], v[2:3], v[26:27]
	v_fmac_f64_e32 v[20:21], v[30:31], v[0:1]
	v_fma_f64 v[22:23], -v[0:1], v[24:25], v[22:23]
	ds_write_b128 v228, v[20:23] offset:8640
	v_fma_f64 v[20:21], v[28:29], 0.5, -v[32:33]
	v_fma_f64 v[2:3], v[30:31], v[2:3], -v[26:27]
	v_fma_f64 v[20:21], -v[30:31], v[0:1], v[20:21]
	v_fma_f64 v[22:23], -v[0:1], v[24:25], v[2:3]
	ds_write_b128 v18, v[20:23] offset:25920
	ds_read_b128 v[20:23], v228 offset:9600
	ds_read_b128 v[24:27], v18 offset:24960
	global_load_dwordx4 v[0:3], v[16:17], off offset:192
	s_waitcnt lgkmcnt(0)
	v_add_f64 v[28:29], v[20:21], v[24:25]
	v_add_f64 v[20:21], v[20:21], -v[24:25]
	v_add_f64 v[30:31], v[22:23], v[26:27]
	v_add_f64 v[22:23], v[22:23], -v[26:27]
	v_mul_f64 v[24:25], v[20:21], 0.5
	;; [unrolled: 23-line block ×4, first 2 shown]
	v_mul_f64 v[30:31], v[30:31], 0.5
	v_mul_f64 v[22:23], v[14:15], 0.5
	s_waitcnt vmcnt(3)
	v_mul_f64 v[32:33], v[20:21], v[10:11]
	v_fma_f64 v[12:13], 0.5, v[28:29], v[32:33]
	v_fma_f64 v[14:15], v[30:31], v[10:11], v[22:23]
	v_fmac_f64_e32 v[12:13], v[30:31], v[8:9]
	v_fma_f64 v[14:15], -v[8:9], v[20:21], v[14:15]
	ds_write_b128 v228, v[12:15] offset:11520
	v_fma_f64 v[12:13], v[28:29], 0.5, -v[32:33]
	v_fma_f64 v[10:11], v[30:31], v[10:11], -v[22:23]
	v_fma_f64 v[12:13], -v[30:31], v[8:9], v[12:13]
	v_fma_f64 v[14:15], -v[8:9], v[20:21], v[10:11]
	ds_write_b128 v18, v[12:15] offset:23040
	v_lshl_add_u64 v[20:21], v[36:37], 4, s[4:5]
	ds_read_b128 v[8:11], v228 offset:12480
	ds_read_b128 v[12:15], v18 offset:22080
	global_load_dwordx4 v[20:23], v[20:21], off
	s_waitcnt lgkmcnt(0)
	v_add_f64 v[28:29], v[8:9], v[12:13]
	v_add_f64 v[8:9], v[8:9], -v[12:13]
	v_add_f64 v[30:31], v[10:11], v[14:15]
	v_add_f64 v[10:11], v[10:11], -v[14:15]
	v_mul_f64 v[12:13], v[8:9], 0.5
	v_mul_f64 v[30:31], v[30:31], 0.5
	;; [unrolled: 1-line block ×3, first 2 shown]
	s_waitcnt vmcnt(3)
	v_mul_f64 v[32:33], v[12:13], v[2:3]
	v_fma_f64 v[8:9], 0.5, v[28:29], v[32:33]
	v_fma_f64 v[10:11], v[30:31], v[2:3], v[14:15]
	v_fmac_f64_e32 v[8:9], v[30:31], v[0:1]
	v_fma_f64 v[10:11], -v[0:1], v[12:13], v[10:11]
	ds_write_b128 v228, v[8:11] offset:12480
	v_fma_f64 v[8:9], v[28:29], 0.5, -v[32:33]
	v_fma_f64 v[2:3], v[30:31], v[2:3], -v[14:15]
	v_fma_f64 v[8:9], -v[30:31], v[0:1], v[8:9]
	v_fma_f64 v[10:11], -v[0:1], v[12:13], v[2:3]
	ds_write_b128 v18, v[8:11] offset:22080
	ds_read_b128 v[0:3], v228 offset:13440
	ds_read_b128 v[8:11], v18 offset:21120
	global_load_dwordx4 v[12:15], v[16:17], off offset:4032
	s_waitcnt lgkmcnt(0)
	v_add_f64 v[16:17], v[0:1], v[8:9]
	v_add_f64 v[0:1], v[0:1], -v[8:9]
	v_add_f64 v[28:29], v[2:3], v[10:11]
	v_add_f64 v[2:3], v[2:3], -v[10:11]
	v_mul_f64 v[8:9], v[0:1], 0.5
	v_mul_f64 v[28:29], v[28:29], 0.5
	v_mul_f64 v[10:11], v[2:3], 0.5
	s_waitcnt vmcnt(3)
	v_mul_f64 v[30:31], v[8:9], v[6:7]
	v_fma_f64 v[0:1], 0.5, v[16:17], v[30:31]
	v_fma_f64 v[2:3], v[28:29], v[6:7], v[10:11]
	v_fmac_f64_e32 v[0:1], v[28:29], v[4:5]
	v_fma_f64 v[2:3], -v[4:5], v[8:9], v[2:3]
	ds_write_b128 v228, v[0:3] offset:13440
	v_fma_f64 v[0:1], v[16:17], 0.5, -v[30:31]
	v_fma_f64 v[2:3], v[28:29], v[6:7], -v[10:11]
	v_fma_f64 v[0:1], -v[28:29], v[4:5], v[0:1]
	v_fma_f64 v[2:3], -v[4:5], v[8:9], v[2:3]
	ds_write_b128 v18, v[0:3] offset:21120
	ds_read_b128 v[0:3], v228 offset:14400
	ds_read_b128 v[4:7], v18 offset:20160
	s_waitcnt lgkmcnt(0)
	v_add_f64 v[8:9], v[0:1], v[4:5]
	v_add_f64 v[0:1], v[0:1], -v[4:5]
	v_add_f64 v[10:11], v[2:3], v[6:7]
	v_add_f64 v[2:3], v[2:3], -v[6:7]
	v_mul_f64 v[4:5], v[0:1], 0.5
	v_mul_f64 v[10:11], v[10:11], 0.5
	v_mul_f64 v[6:7], v[2:3], 0.5
	s_waitcnt vmcnt(2)
	v_mul_f64 v[16:17], v[4:5], v[26:27]
	v_fma_f64 v[0:1], 0.5, v[8:9], v[16:17]
	v_fma_f64 v[2:3], v[10:11], v[26:27], v[6:7]
	v_fmac_f64_e32 v[0:1], v[10:11], v[24:25]
	v_fma_f64 v[2:3], -v[24:25], v[4:5], v[2:3]
	ds_write_b128 v228, v[0:3] offset:14400
	v_fma_f64 v[0:1], v[8:9], 0.5, -v[16:17]
	v_fma_f64 v[2:3], v[10:11], v[26:27], -v[6:7]
	v_fma_f64 v[0:1], -v[10:11], v[24:25], v[0:1]
	v_fma_f64 v[2:3], -v[24:25], v[4:5], v[2:3]
	ds_write_b128 v18, v[0:3] offset:20160
	ds_read_b128 v[0:3], v228 offset:15360
	ds_read_b128 v[4:7], v18 offset:19200
	;; [unrolled: 22-line block ×3, first 2 shown]
	s_waitcnt lgkmcnt(0)
	v_add_f64 v[8:9], v[0:1], v[4:5]
	v_add_f64 v[0:1], v[0:1], -v[4:5]
	v_add_f64 v[10:11], v[2:3], v[6:7]
	v_add_f64 v[2:3], v[2:3], -v[6:7]
	v_mul_f64 v[4:5], v[0:1], 0.5
	v_mul_f64 v[10:11], v[10:11], 0.5
	;; [unrolled: 1-line block ×3, first 2 shown]
	s_waitcnt vmcnt(0)
	v_mul_f64 v[16:17], v[4:5], v[14:15]
	v_fma_f64 v[0:1], 0.5, v[8:9], v[16:17]
	v_fma_f64 v[2:3], v[10:11], v[14:15], v[6:7]
	v_fmac_f64_e32 v[0:1], v[10:11], v[12:13]
	v_fma_f64 v[2:3], -v[12:13], v[4:5], v[2:3]
	ds_write_b128 v228, v[0:3] offset:16320
	v_fma_f64 v[0:1], v[8:9], 0.5, -v[16:17]
	v_fma_f64 v[2:3], v[10:11], v[14:15], -v[6:7]
	v_fma_f64 v[0:1], -v[10:11], v[12:13], v[0:1]
	v_fma_f64 v[2:3], -v[12:13], v[4:5], v[2:3]
	ds_write_b128 v18, v[0:3] offset:18240
	s_waitcnt lgkmcnt(0)
	; wave barrier
	s_waitcnt lgkmcnt(0)
	s_and_saveexec_b64 s[4:5], s[0:1]
	s_cbranch_execz .LBB0_22
; %bb.20:
	v_mul_lo_u32 v2, s3, v210
	v_mul_lo_u32 v3, s2, v211
	v_mad_u64_u32 v[0:1], s[0:1], s2, v210, 0
	v_lshl_add_u32 v16, v160, 4, 0
	v_add3_u32 v1, v1, v3, v2
	ds_read_b128 v[2:5], v16
	v_lshl_add_u64 v[0:1], v[0:1], 4, s[6:7]
	v_mov_b32_e32 v161, v37
	v_lshl_add_u64 v[0:1], v[190:191], 4, v[0:1]
	v_lshl_add_u64 v[14:15], v[160:161], 4, v[0:1]
	ds_read_b128 v[6:9], v16 offset:33600
	ds_read_b128 v[10:13], v16 offset:960
	s_waitcnt lgkmcnt(2)
	global_store_dwordx4 v[14:15], v[2:5], off
	ds_read_b128 v[2:5], v16 offset:1920
	v_add_u32_e32 v36, 60, v160
	v_lshl_add_u64 v[14:15], v[36:37], 4, v[0:1]
	v_add_u32_e32 v36, 0x78, v160
	s_waitcnt lgkmcnt(1)
	global_store_dwordx4 v[14:15], v[10:13], off
	ds_read_b128 v[10:13], v16 offset:2880
	v_lshl_add_u64 v[14:15], v[36:37], 4, v[0:1]
	s_waitcnt lgkmcnt(1)
	global_store_dwordx4 v[14:15], v[2:5], off
	ds_read_b128 v[2:5], v16 offset:3840
	v_add_u32_e32 v36, 0xb4, v160
	v_lshl_add_u64 v[14:15], v[36:37], 4, v[0:1]
	v_add_u32_e32 v36, 0xf0, v160
	s_waitcnt lgkmcnt(1)
	global_store_dwordx4 v[14:15], v[10:13], off
	ds_read_b128 v[10:13], v16 offset:4800
	v_lshl_add_u64 v[14:15], v[36:37], 4, v[0:1]
	;; [unrolled: 10-line block ×16, first 2 shown]
	s_waitcnt lgkmcnt(1)
	global_store_dwordx4 v[14:15], v[2:5], off
	ds_read_b128 v[2:5], v16 offset:32640
	v_add_u32_e32 v36, 0x7bc, v160
	v_lshl_add_u64 v[14:15], v[36:37], 4, v[0:1]
	v_add_u32_e32 v36, 0x7f8, v160
	s_waitcnt lgkmcnt(1)
	global_store_dwordx4 v[14:15], v[10:13], off
	v_cmp_eq_u32_e32 vcc, 59, v160
	s_nop 0
	v_lshl_add_u64 v[10:11], v[36:37], 4, v[0:1]
	v_add_u32_e32 v36, 0x834, v160
	s_waitcnt lgkmcnt(0)
	global_store_dwordx4 v[10:11], v[2:5], off
	s_nop 1
	v_lshl_add_u64 v[2:3], v[36:37], 4, v[0:1]
	global_store_dwordx4 v[2:3], v[6:9], off
	s_and_b64 exec, exec, vcc
	s_cbranch_execz .LBB0_22
; %bb.21:
	v_mov_b32_e32 v2, 0
	ds_read_b128 v[2:5], v2 offset:34560
	v_add_co_u32_e32 v0, vcc, 0x8000, v0
	s_nop 1
	v_addc_co_u32_e32 v1, vcc, 0, v1, vcc
	s_waitcnt lgkmcnt(0)
	global_store_dwordx4 v[0:1], v[2:5], off offset:1792
.LBB0_22:
	s_endpgm
	.section	.rodata,"a",@progbits
	.p2align	6, 0x0
	.amdhsa_kernel fft_rtc_fwd_len2160_factors_10_6_6_6_wgs_60_tpt_60_halfLds_dp_op_CI_CI_unitstride_sbrr_R2C_dirReg
		.amdhsa_group_segment_fixed_size 0
		.amdhsa_private_segment_fixed_size 0
		.amdhsa_kernarg_size 104
		.amdhsa_user_sgpr_count 2
		.amdhsa_user_sgpr_dispatch_ptr 0
		.amdhsa_user_sgpr_queue_ptr 0
		.amdhsa_user_sgpr_kernarg_segment_ptr 1
		.amdhsa_user_sgpr_dispatch_id 0
		.amdhsa_user_sgpr_kernarg_preload_length 0
		.amdhsa_user_sgpr_kernarg_preload_offset 0
		.amdhsa_user_sgpr_private_segment_size 0
		.amdhsa_uses_dynamic_stack 0
		.amdhsa_enable_private_segment 0
		.amdhsa_system_sgpr_workgroup_id_x 1
		.amdhsa_system_sgpr_workgroup_id_y 0
		.amdhsa_system_sgpr_workgroup_id_z 0
		.amdhsa_system_sgpr_workgroup_info 0
		.amdhsa_system_vgpr_workitem_id 0
		.amdhsa_next_free_vgpr 270
		.amdhsa_next_free_sgpr 28
		.amdhsa_accum_offset 256
		.amdhsa_reserve_vcc 1
		.amdhsa_float_round_mode_32 0
		.amdhsa_float_round_mode_16_64 0
		.amdhsa_float_denorm_mode_32 3
		.amdhsa_float_denorm_mode_16_64 3
		.amdhsa_dx10_clamp 1
		.amdhsa_ieee_mode 1
		.amdhsa_fp16_overflow 0
		.amdhsa_tg_split 0
		.amdhsa_exception_fp_ieee_invalid_op 0
		.amdhsa_exception_fp_denorm_src 0
		.amdhsa_exception_fp_ieee_div_zero 0
		.amdhsa_exception_fp_ieee_overflow 0
		.amdhsa_exception_fp_ieee_underflow 0
		.amdhsa_exception_fp_ieee_inexact 0
		.amdhsa_exception_int_div_zero 0
	.end_amdhsa_kernel
	.text
.Lfunc_end0:
	.size	fft_rtc_fwd_len2160_factors_10_6_6_6_wgs_60_tpt_60_halfLds_dp_op_CI_CI_unitstride_sbrr_R2C_dirReg, .Lfunc_end0-fft_rtc_fwd_len2160_factors_10_6_6_6_wgs_60_tpt_60_halfLds_dp_op_CI_CI_unitstride_sbrr_R2C_dirReg
                                        ; -- End function
	.section	.AMDGPU.csdata,"",@progbits
; Kernel info:
; codeLenInByte = 24340
; NumSgprs: 34
; NumVgprs: 256
; NumAgprs: 14
; TotalNumVgprs: 270
; ScratchSize: 0
; MemoryBound: 0
; FloatMode: 240
; IeeeMode: 1
; LDSByteSize: 0 bytes/workgroup (compile time only)
; SGPRBlocks: 4
; VGPRBlocks: 33
; NumSGPRsForWavesPerEU: 34
; NumVGPRsForWavesPerEU: 270
; AccumOffset: 256
; Occupancy: 1
; WaveLimiterHint : 1
; COMPUTE_PGM_RSRC2:SCRATCH_EN: 0
; COMPUTE_PGM_RSRC2:USER_SGPR: 2
; COMPUTE_PGM_RSRC2:TRAP_HANDLER: 0
; COMPUTE_PGM_RSRC2:TGID_X_EN: 1
; COMPUTE_PGM_RSRC2:TGID_Y_EN: 0
; COMPUTE_PGM_RSRC2:TGID_Z_EN: 0
; COMPUTE_PGM_RSRC2:TIDIG_COMP_CNT: 0
; COMPUTE_PGM_RSRC3_GFX90A:ACCUM_OFFSET: 63
; COMPUTE_PGM_RSRC3_GFX90A:TG_SPLIT: 0
	.text
	.p2alignl 6, 3212836864
	.fill 256, 4, 3212836864
	.type	__hip_cuid_1f0239273f0778ff,@object ; @__hip_cuid_1f0239273f0778ff
	.section	.bss,"aw",@nobits
	.globl	__hip_cuid_1f0239273f0778ff
__hip_cuid_1f0239273f0778ff:
	.byte	0                               ; 0x0
	.size	__hip_cuid_1f0239273f0778ff, 1

	.ident	"AMD clang version 19.0.0git (https://github.com/RadeonOpenCompute/llvm-project roc-6.4.0 25133 c7fe45cf4b819c5991fe208aaa96edf142730f1d)"
	.section	".note.GNU-stack","",@progbits
	.addrsig
	.addrsig_sym __hip_cuid_1f0239273f0778ff
	.amdgpu_metadata
---
amdhsa.kernels:
  - .agpr_count:     14
    .args:
      - .actual_access:  read_only
        .address_space:  global
        .offset:         0
        .size:           8
        .value_kind:     global_buffer
      - .offset:         8
        .size:           8
        .value_kind:     by_value
      - .actual_access:  read_only
        .address_space:  global
        .offset:         16
        .size:           8
        .value_kind:     global_buffer
      - .actual_access:  read_only
        .address_space:  global
        .offset:         24
        .size:           8
        .value_kind:     global_buffer
      - .actual_access:  read_only
        .address_space:  global
        .offset:         32
        .size:           8
        .value_kind:     global_buffer
      - .offset:         40
        .size:           8
        .value_kind:     by_value
      - .actual_access:  read_only
        .address_space:  global
        .offset:         48
        .size:           8
        .value_kind:     global_buffer
      - .actual_access:  read_only
        .address_space:  global
        .offset:         56
        .size:           8
        .value_kind:     global_buffer
      - .offset:         64
        .size:           4
        .value_kind:     by_value
      - .actual_access:  read_only
        .address_space:  global
        .offset:         72
        .size:           8
        .value_kind:     global_buffer
      - .actual_access:  read_only
        .address_space:  global
        .offset:         80
        .size:           8
        .value_kind:     global_buffer
      - .actual_access:  read_only
        .address_space:  global
        .offset:         88
        .size:           8
        .value_kind:     global_buffer
      - .actual_access:  write_only
        .address_space:  global
        .offset:         96
        .size:           8
        .value_kind:     global_buffer
    .group_segment_fixed_size: 0
    .kernarg_segment_align: 8
    .kernarg_segment_size: 104
    .language:       OpenCL C
    .language_version:
      - 2
      - 0
    .max_flat_workgroup_size: 60
    .name:           fft_rtc_fwd_len2160_factors_10_6_6_6_wgs_60_tpt_60_halfLds_dp_op_CI_CI_unitstride_sbrr_R2C_dirReg
    .private_segment_fixed_size: 0
    .sgpr_count:     34
    .sgpr_spill_count: 0
    .symbol:         fft_rtc_fwd_len2160_factors_10_6_6_6_wgs_60_tpt_60_halfLds_dp_op_CI_CI_unitstride_sbrr_R2C_dirReg.kd
    .uniform_work_group_size: 1
    .uses_dynamic_stack: false
    .vgpr_count:     270
    .vgpr_spill_count: 2
    .wavefront_size: 64
amdhsa.target:   amdgcn-amd-amdhsa--gfx950
amdhsa.version:
  - 1
  - 2
...

	.end_amdgpu_metadata
